;; amdgpu-corpus repo=ROCm/rocFFT kind=compiled arch=gfx950 opt=O3
	.text
	.amdgcn_target "amdgcn-amd-amdhsa--gfx950"
	.amdhsa_code_object_version 6
	.protected	bluestein_single_fwd_len1764_dim1_dp_op_CI_CI ; -- Begin function bluestein_single_fwd_len1764_dim1_dp_op_CI_CI
	.globl	bluestein_single_fwd_len1764_dim1_dp_op_CI_CI
	.p2align	8
	.type	bluestein_single_fwd_len1764_dim1_dp_op_CI_CI,@function
bluestein_single_fwd_len1764_dim1_dp_op_CI_CI: ; @bluestein_single_fwd_len1764_dim1_dp_op_CI_CI
; %bb.0:
	s_load_dwordx4 s[12:15], s[0:1], 0x28
	v_mul_u32_u24_e32 v1, 0x209, v0
	v_mov_b32_e32 v19, 0
	v_add_u32_sdwa v20, s2, v1 dst_sel:DWORD dst_unused:UNUSED_PAD src0_sel:DWORD src1_sel:WORD_1
	v_mov_b32_e32 v21, v19
	s_waitcnt lgkmcnt(0)
	v_cmp_gt_u64_e32 vcc, s[12:13], v[20:21]
	s_and_saveexec_b64 s[2:3], vcc
	s_cbranch_execz .LBB0_18
; %bb.1:
	s_load_dwordx4 s[4:7], s[0:1], 0x18
	s_load_dwordx4 s[8:11], s[0:1], 0x0
	v_mov_b32_e32 v2, s14
	v_mov_b32_e32 v3, s15
	s_movk_i32 s2, 0x7e
	s_waitcnt lgkmcnt(0)
	s_load_dwordx4 s[12:15], s[4:5], 0x0
	v_mul_lo_u16_sdwa v1, v1, s2 dst_sel:DWORD dst_unused:UNUSED_PAD src0_sel:WORD_1 src1_sel:DWORD
	v_sub_u16_e32 v18, v0, v1
	v_lshlrev_b32_e32 v16, 4, v18
	v_mov_b32_e32 v17, v19
	s_waitcnt lgkmcnt(0)
	v_mad_u64_u32 v[0:1], s[2:3], s14, v20, 0
	v_mov_b32_e32 v4, v1
	v_mad_u64_u32 v[4:5], s[2:3], s15, v20, v[4:5]
	v_mov_b32_e32 v1, v4
	v_mad_u64_u32 v[4:5], s[2:3], s12, v18, 0
	v_mov_b32_e32 v6, v5
	v_mad_u64_u32 v[6:7], s[2:3], s13, v18, v[6:7]
	v_mov_b32_e32 v5, v6
	v_lshl_add_u64 v[0:1], v[0:1], 4, v[2:3]
	v_lshl_add_u64 v[2:3], v[4:5], 4, v[0:1]
	;; [unrolled: 1-line block ×3, first 2 shown]
	v_mov_b32_e32 v17, 0x3720
	global_load_dwordx4 v[56:59], v[2:3], off
	v_mad_u64_u32 v[2:3], s[2:3], s12, v17, v[2:3]
	s_mul_i32 s2, s13, 0x3720
	s_movk_i32 s3, 0x3000
	v_add_u32_e32 v3, s2, v3
	v_add_co_u32_e32 v4, vcc, s3, v0
	v_mov_b32_e32 v21, 0xffffd0c0
	s_mul_i32 s3, s13, 0xffffd0c0
	v_mad_u64_u32 v[6:7], s[4:5], s12, v21, v[2:3]
	s_sub_i32 s3, s3, s12
	v_add_u32_e32 v7, s3, v7
	global_load_dwordx4 v[64:67], v[2:3], off
	global_load_dwordx4 v[60:63], v[6:7], off
	global_load_dwordx4 v[52:55], v16, s[8:9]
	global_load_dwordx4 v[26:29], v16, s[8:9] offset:2016
	v_mad_u64_u32 v[2:3], s[4:5], s12, v17, v[6:7]
	v_addc_co_u32_e32 v5, vcc, 0, v1, vcc
	v_add_u32_e32 v3, s2, v3
	global_load_dwordx4 v[34:37], v[4:5], off offset:1824
	global_load_dwordx4 v[30:33], v[4:5], off offset:3840
	v_mad_u64_u32 v[4:5], s[4:5], s12, v21, v[2:3]
	v_add_u32_e32 v5, s3, v5
	global_load_dwordx4 v[72:75], v[2:3], off
	global_load_dwordx4 v[68:71], v[4:5], off
	global_load_dwordx4 v[38:41], v16, s[8:9] offset:4032
	v_mad_u64_u32 v[2:3], s[4:5], s12, v17, v[4:5]
	v_add_u32_e32 v3, s2, v3
	s_movk_i32 s4, 0x4000
	global_load_dwordx4 v[76:79], v[2:3], off
	v_add_co_u32_e32 v4, vcc, s4, v0
	v_mad_u64_u32 v[2:3], s[4:5], s12, v21, v[2:3]
	s_nop 0
	v_addc_co_u32_e32 v5, vcc, 0, v1, vcc
	v_add_u32_e32 v3, s3, v3
	s_movk_i32 s4, 0x1000
	global_load_dwordx4 v[80:83], v[2:3], off
	v_add_co_u32_e32 v6, vcc, s4, v0
	v_mad_u64_u32 v[2:3], s[4:5], s12, v17, v[2:3]
	v_add_u32_e32 v3, s2, v3
	global_load_dwordx4 v[8:11], v[2:3], off
	global_load_dwordx4 v[46:49], v[4:5], off offset:1760
	global_load_dwordx4 v[42:45], v[4:5], off offset:3776
	v_mad_u64_u32 v[2:3], s[4:5], s12, v21, v[2:3]
	v_add_u32_e32 v3, s3, v3
	v_addc_co_u32_e32 v7, vcc, 0, v1, vcc
	global_load_dwordx4 v[12:15], v[2:3], off
	global_load_dwordx4 v[104:107], v[6:7], off offset:1952
	global_load_dwordx4 v[100:103], v[6:7], off offset:3968
	v_mad_u64_u32 v[2:3], s[4:5], s12, v17, v[2:3]
	v_add_u32_e32 v3, s2, v3
	s_movk_i32 s4, 0x5000
	global_load_dwordx4 v[22:25], v[2:3], off
	v_add_co_u32_e32 v4, vcc, s4, v0
	v_mad_u64_u32 v[2:3], s[4:5], s12, v21, v[2:3]
	s_nop 0
	v_addc_co_u32_e32 v5, vcc, 0, v1, vcc
	v_add_u32_e32 v3, s3, v3
	s_movk_i32 s4, 0x2000
	global_load_dwordx4 v[84:87], v[2:3], off
	v_add_co_u32_e32 v6, vcc, s4, v0
	v_mad_u64_u32 v[2:3], s[4:5], s12, v17, v[2:3]
	s_nop 0
	v_addc_co_u32_e32 v7, vcc, 0, v1, vcc
	global_load_dwordx4 v[116:119], v[4:5], off offset:1696
	global_load_dwordx4 v[112:115], v[6:7], off offset:1888
	v_add_u32_e32 v3, s2, v3
	global_load_dwordx4 v[88:91], v[2:3], off
	global_load_dwordx4 v[108:111], v[4:5], off offset:3712
	v_mad_u64_u32 v[2:3], s[4:5], s12, v21, v[2:3]
	v_add_u32_e32 v3, s3, v3
	global_load_dwordx4 v[92:95], v[2:3], off
	global_load_dwordx4 v[120:123], v[6:7], off offset:3904
	v_mad_u64_u32 v[2:3], s[4:5], s12, v17, v[2:3]
	v_add_u32_e32 v3, s2, v3
	s_movk_i32 s2, 0x6000
	v_add_co_u32_e32 v0, vcc, s2, v0
	global_load_dwordx4 v[96:99], v[2:3], off
	s_nop 0
	v_addc_co_u32_e32 v1, vcc, 0, v1, vcc
	global_load_dwordx4 v[124:127], v[0:1], off offset:1632
	s_load_dwordx4 s[4:7], s[6:7], 0x0
	s_mov_b64 s[2:3], 0x7e
                                        ; implicit-def: $vgpr136_vgpr137
	s_waitcnt vmcnt(24)
	v_mul_f64 v[0:1], v[58:59], v[54:55]
	v_mul_f64 v[2:3], v[56:57], v[54:55]
	v_fmac_f64_e32 v[0:1], v[56:57], v[52:53]
	v_fma_f64 v[2:3], v[58:59], v[52:53], -v[2:3]
	ds_write_b128 v16, v[0:3]
	s_waitcnt vmcnt(23)
	v_mul_f64 v[4:5], v[62:63], v[28:29]
	s_waitcnt vmcnt(22)
	v_mul_f64 v[0:1], v[66:67], v[36:37]
	v_mul_f64 v[2:3], v[64:65], v[36:37]
	v_fmac_f64_e32 v[0:1], v[64:65], v[34:35]
	v_fma_f64 v[2:3], v[66:67], v[34:35], -v[2:3]
	ds_write_b128 v16, v[0:3] offset:14112
	v_mul_f64 v[0:1], v[60:61], v[28:29]
	v_fmac_f64_e32 v[4:5], v[60:61], v[26:27]
	v_fma_f64 v[6:7], v[62:63], v[26:27], -v[0:1]
	s_waitcnt vmcnt(20)
	v_mul_f64 v[0:1], v[72:73], v[32:33]
	ds_write_b128 v16, v[4:7] offset:2016
	v_fma_f64 v[6:7], v[74:75], v[30:31], -v[0:1]
	s_waitcnt vmcnt(18)
	v_mul_f64 v[56:57], v[70:71], v[40:41]
	v_mul_f64 v[0:1], v[68:69], v[40:41]
	v_fmac_f64_e32 v[56:57], v[68:69], v[38:39]
	v_fma_f64 v[58:59], v[70:71], v[38:39], -v[0:1]
	ds_write_b128 v16, v[56:59] offset:4032
	v_mul_f64 v[4:5], v[74:75], v[32:33]
	v_fmac_f64_e32 v[4:5], v[72:73], v[30:31]
	ds_write_b128 v16, v[4:7] offset:16128
	v_lshl_add_u64 v[2:3], v[18:19], 0, s[2:3]
	s_mov_b64 s[2:3], 0xfc
	v_lshlrev_b32_e32 v3, 5, v18
	v_lshl_add_u64 v[6:7], v[18:19], 0, s[2:3]
	s_mov_b64 s[2:3], 0x17a
	s_waitcnt vmcnt(14)
	v_mul_f64 v[56:57], v[78:79], v[48:49]
	v_mul_f64 v[0:1], v[76:77], v[48:49]
	v_fmac_f64_e32 v[56:57], v[76:77], v[46:47]
	v_fma_f64 v[58:59], v[78:79], v[46:47], -v[0:1]
	ds_write_b128 v16, v[56:59] offset:18144
	v_accvgpr_write_b32 a53, v3
	s_waitcnt vmcnt(11)
	v_mul_f64 v[56:57], v[82:83], v[106:107]
	v_mul_f64 v[0:1], v[80:81], v[106:107]
	v_fmac_f64_e32 v[56:57], v[80:81], v[104:105]
	v_fma_f64 v[58:59], v[82:83], v[104:105], -v[0:1]
	ds_write_b128 v16, v[56:59] offset:6048
	v_mul_f64 v[56:57], v[10:11], v[44:45]
	v_mul_f64 v[0:1], v[8:9], v[44:45]
	v_fmac_f64_e32 v[56:57], v[8:9], v[42:43]
	v_fma_f64 v[58:59], v[10:11], v[42:43], -v[0:1]
	s_waitcnt vmcnt(10)
	v_mul_f64 v[8:9], v[14:15], v[102:103]
	v_mul_f64 v[10:11], v[12:13], v[102:103]
	v_fmac_f64_e32 v[8:9], v[12:13], v[100:101]
	v_fma_f64 v[10:11], v[14:15], v[100:101], -v[10:11]
	ds_write_b128 v16, v[8:11] offset:8064
	ds_write_b128 v16, v[56:59] offset:20160
	v_lshl_add_u64 v[4:5], v[18:19], 0, s[2:3]
	s_mov_b64 s[2:3], 0x1f8
	v_lshl_add_u64 v[0:1], v[18:19], 0, s[2:3]
	v_lshlrev_b32_e32 v1, 1, v18
	v_lshlrev_b32_e32 v5, 4, v1
	v_accvgpr_write_b32 a0, v26
	s_waitcnt vmcnt(7)
	v_mul_f64 v[8:9], v[24:25], v[118:119]
	v_mul_f64 v[10:11], v[22:23], v[118:119]
	v_fmac_f64_e32 v[8:9], v[22:23], v[116:117]
	v_fma_f64 v[10:11], v[24:25], v[116:117], -v[10:11]
	ds_write_b128 v16, v[8:11] offset:22176
	s_waitcnt vmcnt(6)
	v_mul_f64 v[8:9], v[86:87], v[114:115]
	v_mul_f64 v[10:11], v[84:85], v[114:115]
	v_fmac_f64_e32 v[8:9], v[84:85], v[112:113]
	v_fma_f64 v[10:11], v[86:87], v[112:113], -v[10:11]
	ds_write_b128 v16, v[8:11] offset:10080
	;; [unrolled: 6-line block ×5, first 2 shown]
	s_waitcnt lgkmcnt(0)
	s_barrier
	ds_read_b128 v[8:11], v16 offset:14112
	ds_read_b128 v[12:15], v16
	ds_read_b128 v[22:25], v16 offset:2016
	ds_read_b128 v[56:59], v16 offset:16128
	;; [unrolled: 1-line block ×12, first 2 shown]
	s_waitcnt lgkmcnt(12)
	v_add_f64 v[8:9], v[12:13], -v[8:9]
	v_add_f64 v[10:11], v[14:15], -v[10:11]
	v_fma_f64 v[12:13], v[12:13], 2.0, -v[8:9]
	v_fma_f64 v[14:15], v[14:15], 2.0, -v[10:11]
	s_waitcnt lgkmcnt(10)
	v_add_f64 v[56:57], v[22:23], -v[56:57]
	v_add_f64 v[58:59], v[24:25], -v[58:59]
	v_fma_f64 v[22:23], v[22:23], 2.0, -v[56:57]
	v_fma_f64 v[24:25], v[24:25], 2.0, -v[58:59]
	s_waitcnt lgkmcnt(8)
	v_add_f64 v[60:61], v[64:65], -v[60:61]
	v_add_f64 v[62:63], v[66:67], -v[62:63]
	s_waitcnt lgkmcnt(0)
	s_barrier
	ds_write_b128 v3, v[12:15]
	ds_write_b128 v3, v[8:11] offset:16
	v_lshlrev_b32_e32 v3, 5, v2
	v_fma_f64 v[64:65], v[64:65], 2.0, -v[60:61]
	v_fma_f64 v[66:67], v[66:67], 2.0, -v[62:63]
	v_add_f64 v[72:73], v[68:69], -v[72:73]
	v_add_f64 v[74:75], v[70:71], -v[74:75]
	ds_write_b128 v3, v[22:25]
	v_accvgpr_write_b32 a54, v3
	ds_write_b128 v3, v[56:59] offset:16
	v_lshlrev_b32_e32 v3, 5, v6
	v_fma_f64 v[68:69], v[68:69], 2.0, -v[72:73]
	v_fma_f64 v[70:71], v[70:71], 2.0, -v[74:75]
	v_add_f64 v[76:77], v[80:81], -v[76:77]
	v_add_f64 v[78:79], v[82:83], -v[78:79]
	ds_write_b128 v3, v[64:67]
	v_accvgpr_write_b32 a55, v3
	ds_write_b128 v3, v[60:63] offset:16
	v_lshlrev_b32_e32 v3, 5, v4
	v_fma_f64 v[80:81], v[80:81], 2.0, -v[76:77]
	v_fma_f64 v[82:83], v[82:83], 2.0, -v[78:79]
	ds_write_b128 v3, v[68:71]
	v_accvgpr_write_b32 a56, v3
	ds_write_b128 v3, v[72:75] offset:16
	v_lshlrev_b32_e32 v3, 5, v0
	ds_write_b128 v3, v[80:83]
	v_accvgpr_write_b32 a57, v3
	ds_write_b128 v3, v[76:79] offset:16
	v_add_u32_e32 v3, 0x4ec, v1
	v_add_f64 v[92:93], v[84:85], -v[92:93]
	v_add_f64 v[94:95], v[86:87], -v[94:95]
	;; [unrolled: 1-line block ×4, first 2 shown]
	v_lshlrev_b32_e32 v7, 4, v3
	v_fma_f64 v[84:85], v[84:85], 2.0, -v[92:93]
	v_fma_f64 v[86:87], v[86:87], 2.0, -v[94:95]
	;; [unrolled: 1-line block ×4, first 2 shown]
	v_accvgpr_write_b32 a58, v7
	ds_write_b128 v7, v[92:95] offset:16
	v_add_u32_e32 v7, 0x5e8, v1
	ds_write_b128 v5, v[84:87] offset:20160
	v_lshlrev_b32_e32 v8, 4, v7
	ds_write_b128 v5, v[88:91] offset:24192
	v_and_b32_e32 v5, 1, v18
	v_accvgpr_write_b32 a59, v8
	ds_write_b128 v8, v[96:99] offset:16
	v_lshlrev_b32_e32 v8, 4, v5
	s_waitcnt lgkmcnt(0)
	s_barrier
	global_load_dwordx4 v[56:59], v8, s[10:11]
	v_accvgpr_write_b32 a24, v100
	v_accvgpr_write_b32 a1, v27
	;; [unrolled: 1-line block ×7, first 2 shown]
	ds_read_b128 v[8:11], v16 offset:14112
	ds_read_b128 v[12:15], v16
	ds_read_b128 v[22:25], v16 offset:2016
	ds_read_b128 v[60:63], v16 offset:16128
	;; [unrolled: 1-line block ×12, first 2 shown]
	v_accvgpr_write_b32 a4, v30
	v_accvgpr_write_b32 a5, v31
	;; [unrolled: 1-line block ×20, first 2 shown]
	s_load_dwordx2 s[2:3], s[0:1], 0x38
	s_movk_i32 s0, 0xfc
	v_and_or_b32 v1, v1, s0, v5
	v_lshlrev_b32_e32 v17, 1, v2
	v_lshlrev_b32_e32 v1, 4, v1
	s_movk_i32 s0, 0x1fc
	s_waitcnt lgkmcnt(0)
	s_barrier
	v_accvgpr_write_b32 a60, v1
	v_lshlrev_b32_e32 v19, 1, v6
	v_lshlrev_b32_e32 v21, 1, v4
	;; [unrolled: 1-line block ×3, first 2 shown]
	v_accvgpr_write_b32 a44, v120
	v_accvgpr_write_b32 a45, v121
	;; [unrolled: 1-line block ×4, first 2 shown]
	s_movk_i32 s1, 0x5fc
	v_accvgpr_write_b32 a48, v124
	v_accvgpr_write_b32 a49, v125
	;; [unrolled: 1-line block ×20, first 2 shown]
	s_waitcnt vmcnt(0)
	v_mul_f64 v[26:27], v[10:11], v[58:59]
	v_fma_f64 v[26:27], v[8:9], v[56:57], -v[26:27]
	v_mul_f64 v[28:29], v[8:9], v[58:59]
	v_mul_f64 v[8:9], v[62:63], v[58:59]
	v_fma_f64 v[30:31], v[60:61], v[56:57], -v[8:9]
	v_mul_f64 v[8:9], v[66:67], v[58:59]
	v_fma_f64 v[106:107], v[64:65], v[56:57], -v[8:9]
	;; [unrolled: 2-line block ×4, first 2 shown]
	v_mul_f64 v[8:9], v[98:99], v[58:59]
	v_fmac_f64_e32 v[28:29], v[10:11], v[56:57]
	v_fma_f64 v[118:119], v[96:97], v[56:57], -v[8:9]
	v_mul_f64 v[96:97], v[96:97], v[58:59]
	v_mul_f64 v[8:9], v[102:103], v[58:59]
	;; [unrolled: 1-line block ×3, first 2 shown]
	v_fmac_f64_e32 v[96:97], v[98:99], v[56:57]
	v_fma_f64 v[98:99], v[100:101], v[56:57], -v[8:9]
	v_add_f64 v[8:9], v[12:13], -v[26:27]
	v_add_f64 v[10:11], v[14:15], -v[28:29]
	v_fmac_f64_e32 v[104:105], v[62:63], v[56:57]
	v_fma_f64 v[12:13], v[12:13], 2.0, -v[8:9]
	v_fma_f64 v[14:15], v[14:15], 2.0, -v[10:11]
	v_mul_f64 v[108:109], v[64:65], v[58:59]
	v_add_f64 v[60:61], v[22:23], -v[30:31]
	v_add_f64 v[62:63], v[24:25], -v[104:105]
	ds_write_b128 v1, v[12:15]
	ds_write_b128 v1, v[8:11] offset:32
	v_and_or_b32 v1, v17, s0, v5
	v_fmac_f64_e32 v[108:109], v[66:67], v[56:57]
	v_fma_f64 v[22:23], v[22:23], 2.0, -v[60:61]
	v_fma_f64 v[24:25], v[24:25], 2.0, -v[62:63]
	v_lshlrev_b32_e32 v1, 4, v1
	s_movk_i32 s0, 0x3fc
	v_mul_f64 v[112:113], v[76:77], v[58:59]
	v_add_f64 v[64:65], v[68:69], -v[106:107]
	v_add_f64 v[66:67], v[70:71], -v[108:109]
	ds_write_b128 v1, v[22:25]
	v_accvgpr_write_b32 a61, v1
	ds_write_b128 v1, v[60:63] offset:32
	v_and_or_b32 v1, v19, s0, v5
	v_fmac_f64_e32 v[112:113], v[78:79], v[56:57]
	v_fma_f64 v[68:69], v[68:69], 2.0, -v[64:65]
	v_fma_f64 v[70:71], v[70:71], 2.0, -v[66:67]
	v_lshlrev_b32_e32 v1, 4, v1
	v_mul_f64 v[116:117], v[80:81], v[58:59]
	v_add_f64 v[76:77], v[72:73], -v[110:111]
	v_add_f64 v[78:79], v[74:75], -v[112:113]
	ds_write_b128 v1, v[68:71]
	v_accvgpr_write_b32 a62, v1
	ds_write_b128 v1, v[64:67] offset:32
	v_and_or_b32 v1, v21, s0, v5
	v_fmac_f64_e32 v[116:117], v[82:83], v[56:57]
	v_fma_f64 v[72:73], v[72:73], 2.0, -v[76:77]
	v_fma_f64 v[74:75], v[74:75], 2.0, -v[78:79]
	v_lshlrev_b32_e32 v1, 4, v1
	s_movk_i32 s0, 0x7fc
	v_add_f64 v[80:81], v[84:85], -v[114:115]
	v_add_f64 v[82:83], v[86:87], -v[116:117]
	ds_write_b128 v1, v[72:75]
	v_accvgpr_write_b32 a63, v1
	ds_write_b128 v1, v[76:79] offset:32
	v_and_or_b32 v1, v32, s0, v5
	v_mul_f64 v[120:121], v[100:101], v[58:59]
	v_fma_f64 v[84:85], v[84:85], 2.0, -v[80:81]
	v_fma_f64 v[86:87], v[86:87], 2.0, -v[82:83]
	v_lshlrev_b32_e32 v1, 4, v1
	v_fmac_f64_e32 v[120:121], v[102:103], v[56:57]
	v_add_f64 v[100:101], v[88:89], -v[118:119]
	v_add_f64 v[102:103], v[90:91], -v[96:97]
	ds_write_b128 v1, v[84:87]
	v_accvgpr_write_b32 a64, v1
	ds_write_b128 v1, v[80:83] offset:32
	v_and_or_b32 v1, v3, s1, v5
	v_fma_f64 v[88:89], v[88:89], 2.0, -v[100:101]
	v_fma_f64 v[90:91], v[90:91], 2.0, -v[102:103]
	v_lshlrev_b32_e32 v1, 4, v1
	v_add_f64 v[96:97], v[92:93], -v[98:99]
	v_add_f64 v[98:99], v[94:95], -v[120:121]
	ds_write_b128 v1, v[88:91]
	v_accvgpr_write_b32 a65, v1
	ds_write_b128 v1, v[100:103] offset:32
	v_and_or_b32 v1, v7, s0, v5
	v_fma_f64 v[120:121], v[92:93], 2.0, -v[96:97]
	v_fma_f64 v[122:123], v[94:95], 2.0, -v[98:99]
	v_lshlrev_b32_e32 v1, 4, v1
	ds_write_b128 v1, v[120:123]
	ds_write_b128 v1, v[96:99] offset:32
	s_waitcnt lgkmcnt(0)
	s_barrier
	ds_read_b128 v[92:95], v16
	ds_read_b128 v[88:91], v16 offset:2016
	ds_read_b128 v[116:119], v16 offset:9408
	;; [unrolled: 1-line block ×11, first 2 shown]
	s_movk_i32 s0, 0x54
	v_accvgpr_write_b32 a66, v1
	v_cmp_gt_u16_e32 vcc, s0, v18
	s_and_saveexec_b64 s[0:1], vcc
	s_cbranch_execz .LBB0_3
; %bb.2:
	ds_read_b128 v[120:123], v16 offset:8064
	ds_read_b128 v[96:99], v16 offset:17472
	;; [unrolled: 1-line block ×3, first 2 shown]
.LBB0_3:
	s_or_b64 exec, exec, s[0:1]
	v_and_b32_e32 v7, 3, v18
	v_lshlrev_b32_e32 v1, 5, v7
	global_load_dwordx4 v[64:67], v1, s[10:11] offset:32
	global_load_dwordx4 v[60:63], v1, s[10:11] offset:48
	v_and_b32_e32 v1, 3, v4
	v_lshlrev_b32_e32 v3, 5, v1
	global_load_dwordx4 v[68:71], v3, s[10:11] offset:32
	global_load_dwordx4 v[72:75], v3, s[10:11] offset:48
	;; [unrolled: 1-line block ×3, first 2 shown]
	global_load_dwordx2 v[32:33], v3, s[10:11] offset:56
	v_and_b32_e32 v3, 3, v2
	v_lshlrev_b32_e32 v5, 5, v3
	global_load_dwordx2 v[34:35], v5, s[10:11] offset:32
	v_lshrrev_b32_e32 v5, 2, v18
	s_mov_b32 s0, 0xe8584caa
	v_mul_u32_u24_e32 v5, 12, v5
	s_mov_b32 s1, 0x3febb67a
	s_mov_b32 s13, 0xbfebb67a
	;; [unrolled: 1-line block ×3, first 2 shown]
	v_or_b32_e32 v5, v5, v7
	v_lshlrev_b32_e32 v5, 4, v5
	s_waitcnt lgkmcnt(0)
	s_barrier
	v_accvgpr_write_b32 a67, v5
	v_accvgpr_write_b32 a52, v7
	s_waitcnt vmcnt(6)
	v_mul_f64 v[8:9], v[118:119], v[66:67]
	v_mul_f64 v[10:11], v[116:117], v[66:67]
	s_waitcnt vmcnt(5)
	v_mul_f64 v[12:13], v[126:127], v[62:63]
	v_mul_f64 v[14:15], v[124:125], v[62:63]
	s_waitcnt vmcnt(4)
	v_mul_f64 v[24:25], v[100:101], v[70:71]
	s_waitcnt vmcnt(3)
	v_mul_f64 v[28:29], v[104:105], v[74:75]
	v_mul_f64 v[22:23], v[102:103], v[70:71]
	;; [unrolled: 1-line block ×5, first 2 shown]
	s_waitcnt vmcnt(1)
	v_mul_f64 v[152:153], v[112:113], v[32:33]
	v_mul_f64 v[156:157], v[96:97], v[66:67]
	v_fma_f64 v[8:9], v[116:117], v[64:65], -v[8:9]
	v_fmac_f64_e32 v[10:11], v[118:119], v[64:65]
	v_fma_f64 v[12:13], v[124:125], v[60:61], -v[12:13]
	v_fmac_f64_e32 v[14:15], v[126:127], v[60:61]
	s_waitcnt vmcnt(0)
	v_fmac_f64_e32 v[24:25], v[102:103], v[34:35]
	v_fmac_f64_e32 v[28:29], v[106:107], v[78:79]
	v_mul_f64 v[140:141], v[128:129], v[66:67]
	v_mul_f64 v[144:145], v[132:133], v[62:63]
	;; [unrolled: 1-line block ×6, first 2 shown]
	v_fma_f64 v[22:23], v[100:101], v[34:35], -v[22:23]
	v_fma_f64 v[26:27], v[104:105], v[78:79], -v[26:27]
	;; [unrolled: 1-line block ×4, first 2 shown]
	v_fmac_f64_e32 v[152:153], v[114:115], v[72:73]
	v_fmac_f64_e32 v[156:157], v[98:99], v[64:65]
	v_add_f64 v[98:99], v[8:9], v[12:13]
	v_add_f64 v[104:105], v[10:11], v[14:15]
	v_add_f64 v[114:115], v[24:25], -v[28:29]
	v_add_f64 v[124:125], v[90:91], v[24:25]
	v_add_f64 v[24:25], v[24:25], v[28:29]
	v_fmac_f64_e32 v[140:141], v[130:131], v[64:65]
	v_fmac_f64_e32 v[144:145], v[134:135], v[60:61]
	v_fma_f64 v[116:117], v[108:109], v[68:69], -v[146:147]
	v_fmac_f64_e32 v[148:149], v[110:111], v[68:69]
	v_fma_f64 v[128:129], v[96:97], v[64:65], -v[154:155]
	v_add_f64 v[96:97], v[92:93], v[8:9]
	v_add_f64 v[100:101], v[10:11], -v[14:15]
	v_add_f64 v[102:103], v[94:95], v[10:11]
	v_add_f64 v[108:109], v[8:9], -v[12:13]
	v_add_f64 v[110:111], v[88:89], v[22:23]
	v_fmac_f64_e32 v[92:93], -0.5, v[98:99]
	v_fmac_f64_e32 v[94:95], -0.5, v[104:105]
	;; [unrolled: 1-line block ×3, first 2 shown]
	v_add_f64 v[24:25], v[30:31], v[106:107]
	v_fma_f64 v[118:119], v[112:113], v[72:73], -v[150:151]
	v_add_f64 v[112:113], v[22:23], v[26:27]
	v_add_f64 v[126:127], v[22:23], -v[26:27]
	v_add_f64 v[22:23], v[84:85], v[30:31]
	v_add_f64 v[8:9], v[96:97], v[12:13]
	;; [unrolled: 1-line block ×4, first 2 shown]
	v_fma_f64 v[96:97], s[0:1], v[100:101], v[92:93]
	v_fmac_f64_e32 v[92:93], s[12:13], v[100:101]
	v_fma_f64 v[98:99], s[12:13], v[108:109], v[94:95]
	v_fmac_f64_e32 v[94:95], s[0:1], v[108:109]
	v_fmac_f64_e32 v[84:85], -0.5, v[24:25]
	v_add_f64 v[24:25], v[140:141], -v[144:145]
	v_add_f64 v[26:27], v[140:141], v[144:145]
	v_fma_f64 v[104:105], s[0:1], v[24:25], v[84:85]
	v_fmac_f64_e32 v[84:85], s[12:13], v[24:25]
	v_add_f64 v[24:25], v[86:87], v[140:141]
	v_fmac_f64_e32 v[86:87], -0.5, v[26:27]
	v_add_f64 v[26:27], v[30:31], -v[106:107]
	ds_write_b128 v5, v[8:11]
	ds_write_b128 v5, v[96:99] offset:64
	ds_write_b128 v5, v[92:95] offset:128
	v_lshrrev_b32_e32 v5, 2, v2
	v_add_f64 v[22:23], v[22:23], v[106:107]
	v_fma_f64 v[106:107], s[12:13], v[26:27], v[86:87]
	v_fmac_f64_e32 v[86:87], s[0:1], v[26:27]
	v_add_f64 v[26:27], v[80:81], v[116:117]
	v_mul_u32_u24_e32 v5, 12, v5
	v_fmac_f64_e32 v[88:89], -0.5, v[112:113]
	v_add_f64 v[108:109], v[26:27], v[118:119]
	v_add_f64 v[26:27], v[116:117], v[118:119]
	v_or_b32_e32 v3, v5, v3
	v_add_f64 v[14:15], v[124:125], v[28:29]
	v_fma_f64 v[100:101], s[0:1], v[114:115], v[88:89]
	v_fmac_f64_e32 v[88:89], s[12:13], v[114:115]
	v_fma_f64 v[102:103], s[12:13], v[126:127], v[90:91]
	v_fmac_f64_e32 v[90:91], s[0:1], v[126:127]
	v_fmac_f64_e32 v[80:81], -0.5, v[26:27]
	v_add_f64 v[26:27], v[148:149], -v[152:153]
	v_lshlrev_b32_e32 v3, 4, v3
	v_fma_f64 v[112:113], s[0:1], v[26:27], v[80:81]
	v_fmac_f64_e32 v[80:81], s[12:13], v[26:27]
	v_add_f64 v[26:27], v[82:83], v[148:149]
	ds_write_b128 v3, v[12:15]
	ds_write_b128 v3, v[100:103] offset:64
	v_accvgpr_write_b32 a72, v3
	ds_write_b128 v3, v[88:91] offset:128
	v_lshrrev_b32_e32 v3, 2, v6
	v_add_f64 v[110:111], v[26:27], v[152:153]
	v_add_f64 v[26:27], v[148:149], v[152:153]
	v_mul_u32_u24_e32 v3, 12, v3
	v_mul_f64 v[158:159], v[138:139], v[62:63]
	v_fmac_f64_e32 v[82:83], -0.5, v[26:27]
	v_add_f64 v[26:27], v[116:117], -v[118:119]
	v_or_b32_e32 v3, v3, v7
	v_mul_f64 v[160:161], v[136:137], v[62:63]
	v_fma_f64 v[130:131], v[136:137], v[60:61], -v[158:159]
	v_add_f64 v[24:25], v[24:25], v[144:145]
	v_fma_f64 v[114:115], s[12:13], v[26:27], v[82:83]
	v_fmac_f64_e32 v[82:83], s[0:1], v[26:27]
	v_add_f64 v[26:27], v[120:121], v[128:129]
	v_lshlrev_b32_e32 v3, 4, v3
	v_fmac_f64_e32 v[160:161], v[138:139], v[60:61]
	v_add_f64 v[124:125], v[26:27], v[130:131]
	v_add_f64 v[26:27], v[128:129], v[130:131]
	ds_write_b128 v3, v[22:25]
	ds_write_b128 v3, v[104:107] offset:64
	v_accvgpr_write_b32 a73, v3
	ds_write_b128 v3, v[84:87] offset:128
	v_lshrrev_b32_e32 v3, 2, v4
	v_fmac_f64_e32 v[120:121], -0.5, v[26:27]
	v_add_f64 v[26:27], v[156:157], -v[160:161]
	v_mul_u32_u24_e32 v3, 12, v3
	v_fma_f64 v[144:145], s[0:1], v[26:27], v[120:121]
	v_fmac_f64_e32 v[120:121], s[12:13], v[26:27]
	v_add_f64 v[26:27], v[122:123], v[156:157]
	v_or_b32_e32 v1, v3, v1
	v_add_f64 v[126:127], v[26:27], v[160:161]
	v_add_f64 v[26:27], v[156:157], v[160:161]
	v_lshlrev_b32_e32 v1, 4, v1
	v_accvgpr_write_b32 a69, v33
	v_accvgpr_write_b32 a71, v35
	v_fmac_f64_e32 v[122:123], -0.5, v[26:27]
	v_add_f64 v[26:27], v[128:129], -v[130:131]
	ds_write_b128 v1, v[108:111]
	ds_write_b128 v1, v[112:115] offset:64
	v_accvgpr_write_b32 a74, v1
	ds_write_b128 v1, v[80:83] offset:128
	v_lshrrev_b32_e32 v1, 2, v0
	v_accvgpr_write_b32 a68, v32
	v_accvgpr_write_b32 a70, v34
	v_fma_f64 v[146:147], s[12:13], v[26:27], v[122:123]
	v_fmac_f64_e32 v[122:123], s[0:1], v[26:27]
	v_accvgpr_write_b32 a75, v1
	s_and_saveexec_b64 s[0:1], vcc
	s_cbranch_execz .LBB0_5
; %bb.4:
	v_accvgpr_read_b32 v1, a75
	v_mul_u32_u24_e32 v1, 12, v1
	v_accvgpr_read_b32 v3, a52
	v_or_b32_e32 v1, v1, v3
	v_lshlrev_b32_e32 v1, 4, v1
	ds_write_b128 v1, v[124:127]
	ds_write_b128 v1, v[144:147] offset:64
	ds_write_b128 v1, v[120:123] offset:128
.LBB0_5:
	s_or_b64 exec, exec, s[0:1]
	s_waitcnt lgkmcnt(0)
	s_barrier
	ds_read_b128 v[140:143], v16
	ds_read_b128 v[136:139], v16 offset:2016
	ds_read_b128 v[164:167], v16 offset:9408
	;; [unrolled: 1-line block ×11, first 2 shown]
	s_and_saveexec_b64 s[0:1], vcc
	s_cbranch_execz .LBB0_7
; %bb.6:
	ds_read_b128 v[124:127], v16 offset:8064
	ds_read_b128 v[144:147], v16 offset:17472
	;; [unrolled: 1-line block ×3, first 2 shown]
.LBB0_7:
	s_or_b64 exec, exec, s[0:1]
	s_movk_i32 s0, 0xab
	v_mul_lo_u16_sdwa v1, v18, s0 dst_sel:DWORD dst_unused:UNUSED_PAD src0_sel:BYTE_0 src1_sel:DWORD
	v_lshrrev_b16_e32 v3, 11, v1
	v_mul_lo_u16_e32 v1, 12, v3
	v_sub_u16_e32 v1, v18, v1
	v_and_b32_e32 v17, 0xff, v1
	v_lshlrev_b32_e32 v1, 5, v17
	global_load_dwordx4 v[88:91], v1, s[10:11] offset:176
	global_load_dwordx4 v[92:95], v1, s[10:11] offset:160
	v_mul_lo_u16_sdwa v1, v2, s0 dst_sel:DWORD dst_unused:UNUSED_PAD src0_sel:BYTE_0 src1_sel:DWORD
	v_lshrrev_b16_e32 v19, 11, v1
	v_mul_lo_u16_e32 v1, 12, v19
	v_sub_u16_e32 v1, v2, v1
	v_and_b32_e32 v21, 0xff, v1
	v_lshlrev_b32_e32 v1, 5, v21
	s_mov_b32 s0, 0xaaab
	global_load_dwordx4 v[96:99], v1, s[10:11] offset:176
	global_load_dwordx4 v[100:103], v1, s[10:11] offset:160
	v_mul_u32_u24_sdwa v1, v6, s0 dst_sel:DWORD dst_unused:UNUSED_PAD src0_sel:WORD_0 src1_sel:DWORD
	v_lshrrev_b32_e32 v32, 19, v1
	v_mul_lo_u16_e32 v1, 12, v32
	v_sub_u16_e32 v33, v6, v1
	v_mul_u32_u24_sdwa v1, v4, s0 dst_sel:DWORD dst_unused:UNUSED_PAD src0_sel:WORD_0 src1_sel:DWORD
	v_lshrrev_b32_e32 v34, 19, v1
	v_mul_lo_u16_e32 v1, 12, v34
	v_sub_u16_e32 v35, v4, v1
	v_mul_u32_u24_sdwa v1, v0, s0 dst_sel:DWORD dst_unused:UNUSED_PAD src0_sel:WORD_0 src1_sel:DWORD
	v_lshrrev_b32_e32 v36, 19, v1
	v_lshlrev_b16_e32 v6, 5, v33
	v_mov_b32_e32 v7, 0
	v_mul_lo_u16_e32 v1, 12, v36
	v_lshl_add_u64 v[8:9], s[10:11], 0, v[6:7]
	v_lshlrev_b16_e32 v6, 5, v35
	v_sub_u16_e32 v37, v0, v1
	v_lshl_add_u64 v[4:5], s[10:11], 0, v[6:7]
	v_lshlrev_b16_e32 v6, 5, v37
	v_lshl_add_u64 v[0:1], s[10:11], 0, v[6:7]
	global_load_dwordx4 v[108:111], v[8:9], off offset:160
	global_load_dwordx4 v[104:107], v[8:9], off offset:176
	;; [unrolled: 1-line block ×6, first 2 shown]
	s_mov_b32 s0, 0xe8584caa
	s_mov_b32 s1, 0x3febb67a
	s_mov_b32 s12, s0
	v_mul_u32_u24_e32 v3, 36, v3
	v_add_lshl_u32 v3, v3, v17, 4
	s_waitcnt lgkmcnt(0)
	s_barrier
	v_accvgpr_write_b32 a77, v3
	s_waitcnt vmcnt(9)
	v_mul_f64 v[4:5], v[170:171], v[90:91]
	s_waitcnt vmcnt(8)
	v_mul_f64 v[12:13], v[164:165], v[94:95]
	v_mul_f64 v[14:15], v[168:169], v[90:91]
	;; [unrolled: 1-line block ×3, first 2 shown]
	v_fmac_f64_e32 v[12:13], v[166:167], v[92:93]
	v_fma_f64 v[166:167], v[168:169], v[88:89], -v[4:5]
	v_fmac_f64_e32 v[14:15], v[170:171], v[88:89]
	v_fma_f64 v[164:165], v[164:165], v[92:93], -v[0:1]
	s_waitcnt vmcnt(7)
	v_mul_f64 v[10:11], v[162:163], v[98:99]
	s_waitcnt vmcnt(6)
	v_mul_f64 v[22:23], v[156:157], v[102:103]
	v_mul_f64 v[8:9], v[158:159], v[102:103]
	v_fmac_f64_e32 v[22:23], v[158:159], v[100:101]
	v_fma_f64 v[158:159], v[160:161], v[96:97], -v[10:11]
	v_fma_f64 v[156:157], v[156:157], v[100:101], -v[8:9]
	v_mul_f64 v[24:25], v[160:161], v[98:99]
	v_fmac_f64_e32 v[24:25], v[162:163], v[96:97]
	s_waitcnt vmcnt(5)
	v_mul_f64 v[26:27], v[174:175], v[110:111]
	s_waitcnt vmcnt(4)
	v_mul_f64 v[30:31], v[178:179], v[106:107]
	;; [unrolled: 2-line block ×4, first 2 shown]
	v_mul_f64 v[28:29], v[172:173], v[110:111]
	v_mul_f64 v[180:181], v[176:177], v[106:107]
	v_fma_f64 v[26:27], v[172:173], v[108:109], -v[26:27]
	v_fma_f64 v[30:31], v[176:177], v[104:105], -v[30:31]
	v_mul_f64 v[172:173], v[152:153], v[114:115]
	v_fma_f64 v[176:177], v[152:153], v[112:113], -v[4:5]
	v_mul_f64 v[8:9], v[122:123], v[82:83]
	v_add_f64 v[152:153], v[12:13], -v[14:15]
	v_fmac_f64_e32 v[10:11], v[122:123], v[80:81]
	v_add_f64 v[122:123], v[142:143], v[12:13]
	v_add_f64 v[12:13], v[12:13], v[14:15]
	v_mul_f64 v[0:1], v[150:151], v[118:119]
	v_mul_f64 v[4:5], v[144:145], v[86:87]
	v_fmac_f64_e32 v[142:143], -0.5, v[12:13]
	v_add_f64 v[12:13], v[164:165], -v[166:167]
	v_fmac_f64_e32 v[28:29], v[174:175], v[108:109]
	v_mul_f64 v[170:171], v[148:149], v[118:119]
	v_fma_f64 v[174:175], v[148:149], v[116:117], -v[0:1]
	v_mul_f64 v[0:1], v[146:147], v[86:87]
	v_add_f64 v[148:149], v[140:141], v[164:165]
	v_fmac_f64_e32 v[4:5], v[146:147], v[84:85]
	v_fma_f64 v[146:147], s[12:13], v[12:13], v[142:143]
	v_fmac_f64_e32 v[142:143], s[0:1], v[12:13]
	v_add_f64 v[12:13], v[136:137], v[156:157]
	v_fmac_f64_e32 v[170:171], v[150:151], v[116:117]
	v_add_f64 v[150:151], v[164:165], v[166:167]
	v_fma_f64 v[8:9], v[120:121], v[80:81], -v[8:9]
	v_add_f64 v[120:121], v[148:149], v[166:167]
	v_add_f64 v[148:149], v[12:13], v[158:159]
	;; [unrolled: 1-line block ×3, first 2 shown]
	v_fmac_f64_e32 v[140:141], -0.5, v[150:151]
	v_fmac_f64_e32 v[136:137], -0.5, v[12:13]
	v_add_f64 v[12:13], v[22:23], -v[24:25]
	v_fma_f64 v[0:1], v[144:145], v[84:85], -v[0:1]
	v_fma_f64 v[144:145], s[0:1], v[152:153], v[140:141]
	v_fmac_f64_e32 v[140:141], s[12:13], v[152:153]
	v_fma_f64 v[152:153], s[0:1], v[12:13], v[136:137]
	v_fmac_f64_e32 v[136:137], s[12:13], v[12:13]
	v_add_f64 v[12:13], v[138:139], v[22:23]
	v_add_f64 v[150:151], v[12:13], v[24:25]
	;; [unrolled: 1-line block ×3, first 2 shown]
	v_fmac_f64_e32 v[138:139], -0.5, v[12:13]
	v_add_f64 v[12:13], v[156:157], -v[158:159]
	v_fmac_f64_e32 v[172:173], v[154:155], v[112:113]
	v_fma_f64 v[154:155], s[12:13], v[12:13], v[138:139]
	v_fmac_f64_e32 v[138:139], s[0:1], v[12:13]
	v_add_f64 v[12:13], v[132:133], v[26:27]
	v_fmac_f64_e32 v[180:181], v[178:179], v[104:105]
	v_add_f64 v[156:157], v[12:13], v[30:31]
	v_add_f64 v[12:13], v[26:27], v[30:31]
	v_fmac_f64_e32 v[132:133], -0.5, v[12:13]
	v_add_f64 v[12:13], v[28:29], -v[180:181]
	v_fma_f64 v[160:161], s[0:1], v[12:13], v[132:133]
	v_fmac_f64_e32 v[132:133], s[12:13], v[12:13]
	v_add_f64 v[12:13], v[134:135], v[28:29]
	v_add_f64 v[158:159], v[12:13], v[180:181]
	;; [unrolled: 1-line block ×3, first 2 shown]
	v_fmac_f64_e32 v[134:135], -0.5, v[12:13]
	v_add_f64 v[12:13], v[26:27], -v[30:31]
	v_fma_f64 v[162:163], s[12:13], v[12:13], v[134:135]
	v_fmac_f64_e32 v[134:135], s[0:1], v[12:13]
	v_add_f64 v[12:13], v[128:129], v[174:175]
	v_add_f64 v[122:123], v[122:123], v[14:15]
	;; [unrolled: 1-line block ×4, first 2 shown]
	v_fmac_f64_e32 v[128:129], -0.5, v[12:13]
	v_add_f64 v[12:13], v[170:171], -v[172:173]
	ds_write_b128 v3, v[120:123]
	ds_write_b128 v3, v[144:147] offset:192
	ds_write_b128 v3, v[140:143] offset:384
	v_mul_u32_u24_e32 v3, 36, v19
	v_fma_f64 v[168:169], s[0:1], v[12:13], v[128:129]
	v_fmac_f64_e32 v[128:129], s[12:13], v[12:13]
	v_add_f64 v[12:13], v[130:131], v[170:171]
	v_add_lshl_u32 v3, v3, v21, 4
	v_add_f64 v[166:167], v[12:13], v[172:173]
	v_add_f64 v[12:13], v[170:171], v[172:173]
	ds_write_b128 v3, v[148:151]
	ds_write_b128 v3, v[152:155] offset:192
	v_accvgpr_write_b32 a78, v3
	ds_write_b128 v3, v[136:139] offset:384
	v_mad_legacy_u16 v3, v32, 36, v33
	v_fmac_f64_e32 v[130:131], -0.5, v[12:13]
	v_add_f64 v[12:13], v[174:175], -v[176:177]
	v_lshlrev_b32_e32 v3, 4, v3
	v_fma_f64 v[170:171], s[12:13], v[12:13], v[130:131]
	v_fmac_f64_e32 v[130:131], s[0:1], v[12:13]
	v_add_f64 v[12:13], v[0:1], v[8:9]
	v_add_f64 v[22:23], v[4:5], v[10:11]
	ds_write_b128 v3, v[156:159]
	ds_write_b128 v3, v[160:163] offset:192
	v_accvgpr_write_b32 a79, v3
	ds_write_b128 v3, v[132:135] offset:384
	v_mad_legacy_u16 v3, v34, 36, v35
	v_fma_f64 v[12:13], -0.5, v[12:13], v[124:125]
	v_add_f64 v[14:15], v[4:5], -v[10:11]
	v_fma_f64 v[22:23], -0.5, v[22:23], v[126:127]
	v_add_f64 v[24:25], v[0:1], -v[8:9]
	v_lshlrev_b32_e32 v21, 4, v3
	v_mad_legacy_u16 v3, v36, 36, v37
	v_fma_f64 v[188:189], s[12:13], v[14:15], v[12:13]
	v_fma_f64 v[190:191], s[0:1], v[24:25], v[22:23]
	v_accvgpr_write_b32 a76, v3
	ds_write_b128 v21, v[164:167]
	ds_write_b128 v21, v[168:171] offset:192
	ds_write_b128 v21, v[128:131] offset:384
	s_and_saveexec_b64 s[12:13], vcc
	s_cbranch_execz .LBB0_9
; %bb.8:
	v_add_f64 v[0:1], v[124:125], v[0:1]
	v_add_f64 v[4:5], v[126:127], v[4:5]
	;; [unrolled: 1-line block ×3, first 2 shown]
	v_accvgpr_read_b32 v0, a76
	v_mul_f64 v[26:27], v[14:15], s[0:1]
	v_mul_f64 v[14:15], v[24:25], s[0:1]
	v_add_f64 v[10:11], v[4:5], v[10:11]
	v_lshlrev_b32_e32 v0, 4, v0
	v_add_f64 v[14:15], v[22:23], -v[14:15]
	v_add_f64 v[12:13], v[26:27], v[12:13]
	ds_write_b128 v0, v[8:11]
	ds_write_b128 v0, v[12:15] offset:192
	ds_write_b128 v0, v[188:191] offset:384
.LBB0_9:
	s_or_b64 exec, exec, s[12:13]
	v_mov_b32_e32 v3, 57
	v_mul_lo_u16_sdwa v4, v18, v3 dst_sel:DWORD dst_unused:UNUSED_PAD src0_sel:BYTE_0 src1_sel:DWORD
	v_lshrrev_b16_e32 v17, 11, v4
	v_mul_lo_u16_e32 v4, 36, v17
	v_sub_u16_e32 v4, v18, v4
	v_and_b32_e32 v19, 0xff, v4
	s_movk_i32 s26, 0x60
	v_mov_b64_e32 v[4:5], s[10:11]
	v_mad_u64_u32 v[26:27], s[0:1], v19, s26, v[4:5]
	s_waitcnt lgkmcnt(0)
	s_barrier
	ds_read_b128 v[172:175], v16
	ds_read_b128 v[8:11], v16 offset:4032
	ds_read_b128 v[12:15], v16 offset:8064
	;; [unrolled: 1-line block ×13, first 2 shown]
	global_load_dwordx4 v[120:123], v[26:27], off offset:592
	global_load_dwordx4 v[124:127], v[26:27], off offset:576
	;; [unrolled: 1-line block ×4, first 2 shown]
	v_lshlrev_b32_e32 v6, 4, v18
	v_lshl_add_u64 v[0:1], s[8:9], 0, v[6:7]
	v_mul_lo_u16_sdwa v3, v2, v3 dst_sel:DWORD dst_unused:UNUSED_PAD src0_sel:BYTE_0 src1_sel:DWORD
	s_mov_b32 s8, 0x37e14327
	s_mov_b32 s12, 0xe976ee23
	;; [unrolled: 1-line block ×18, first 2 shown]
	s_waitcnt vmcnt(3) lgkmcnt(9)
	v_mul_f64 v[200:201], v[136:137], v[122:123]
	s_waitcnt vmcnt(2)
	v_mul_f64 v[196:197], v[22:23], v[126:127]
	v_fmac_f64_e32 v[200:201], v[138:139], v[120:121]
	s_waitcnt vmcnt(0)
	v_mul_f64 v[6:7], v[10:11], v[134:135]
	v_fma_f64 v[6:7], v[8:9], v[132:133], -v[6:7]
	v_mul_f64 v[8:9], v[8:9], v[134:135]
	v_fmac_f64_e32 v[8:9], v[10:11], v[132:133]
	v_mul_f64 v[10:11], v[14:15], v[130:131]
	v_fma_f64 v[10:11], v[12:13], v[128:129], -v[10:11]
	v_mul_f64 v[12:13], v[12:13], v[130:131]
	v_fmac_f64_e32 v[12:13], v[14:15], v[128:129]
	v_mul_f64 v[14:15], v[24:25], v[126:127]
	v_fma_f64 v[14:15], v[22:23], v[124:125], -v[14:15]
	v_mul_f64 v[22:23], v[138:139], v[122:123]
	v_fma_f64 v[198:199], v[136:137], v[120:121], -v[22:23]
	global_load_dwordx4 v[136:139], v[26:27], off offset:624
	global_load_dwordx4 v[140:143], v[26:27], off offset:608
	v_fmac_f64_e32 v[196:197], v[24:25], v[124:125]
	v_lshrrev_b16_e32 v24, 11, v3
	v_mul_lo_u16_e32 v3, 36, v24
	v_sub_u16_e32 v2, v2, v3
	v_and_b32_e32 v25, 0xff, v2
	v_mad_u64_u32 v[26:27], s[0:1], v25, s26, v[4:5]
	s_mov_b32 s0, 0x36b3c0b5
	s_mov_b32 s1, 0x3fac98ee
	s_waitcnt vmcnt(1) lgkmcnt(7)
	v_mul_f64 v[212:213], v[144:145], v[138:139]
	s_waitcnt vmcnt(0)
	v_mul_f64 v[22:23], v[150:151], v[142:143]
	v_fma_f64 v[208:209], v[148:149], v[140:141], -v[22:23]
	v_mul_f64 v[210:211], v[148:149], v[142:143]
	v_mul_f64 v[22:23], v[146:147], v[138:139]
	v_fmac_f64_e32 v[210:211], v[150:151], v[140:141]
	v_fma_f64 v[22:23], v[144:145], v[136:137], -v[22:23]
	v_fmac_f64_e32 v[212:213], v[146:147], v[136:137]
	global_load_dwordx4 v[144:147], v[26:27], off offset:592
	global_load_dwordx4 v[148:151], v[26:27], off offset:576
	global_load_dwordx4 v[152:155], v[26:27], off offset:560
	global_load_dwordx4 v[160:163], v[26:27], off offset:544
	s_waitcnt vmcnt(3) lgkmcnt(2)
	v_mul_f64 v[206:207], v[156:157], v[146:147]
	s_waitcnt vmcnt(2)
	v_mul_f64 v[202:203], v[164:165], v[150:151]
	s_waitcnt vmcnt(1)
	;; [unrolled: 2-line block ×3, first 2 shown]
	v_mul_f64 v[2:3], v[194:195], v[162:163]
	v_fma_f64 v[2:3], v[192:193], v[160:161], -v[2:3]
	v_mul_f64 v[192:193], v[192:193], v[162:163]
	v_fmac_f64_e32 v[192:193], v[194:195], v[160:161]
	v_fma_f64 v[194:195], v[184:185], v[152:153], -v[28:29]
	v_mul_f64 v[184:185], v[184:185], v[154:155]
	v_mul_f64 v[28:29], v[166:167], v[150:151]
	v_fmac_f64_e32 v[184:185], v[186:187], v[152:153]
	v_fma_f64 v[186:187], v[164:165], v[148:149], -v[28:29]
	v_mul_f64 v[28:29], v[158:159], v[146:147]
	v_fmac_f64_e32 v[202:203], v[166:167], v[148:149]
	v_fma_f64 v[204:205], v[156:157], v[144:145], -v[28:29]
	v_fmac_f64_e32 v[206:207], v[158:159], v[144:145]
	global_load_dwordx4 v[156:159], v[26:27], off offset:624
	global_load_dwordx4 v[164:167], v[26:27], off offset:608
	s_waitcnt lgkmcnt(0)
	s_barrier
	s_waitcnt vmcnt(1)
	v_mul_f64 v[30:31], v[178:179], v[158:159]
	s_waitcnt vmcnt(0)
	v_mul_f64 v[26:27], v[182:183], v[166:167]
	v_mul_f64 v[28:29], v[180:181], v[166:167]
	v_fma_f64 v[30:31], v[176:177], v[156:157], -v[30:31]
	v_mul_f64 v[214:215], v[176:177], v[158:159]
	v_add_f64 v[176:177], v[6:7], v[22:23]
	v_add_f64 v[6:7], v[6:7], -v[22:23]
	v_add_f64 v[22:23], v[10:11], v[208:209]
	v_fma_f64 v[26:27], v[180:181], v[164:165], -v[26:27]
	v_fmac_f64_e32 v[28:29], v[182:183], v[164:165]
	v_fmac_f64_e32 v[214:215], v[178:179], v[156:157]
	v_add_f64 v[178:179], v[8:9], v[212:213]
	v_add_f64 v[180:181], v[12:13], v[210:211]
	v_add_f64 v[182:183], v[14:15], v[198:199]
	v_add_f64 v[14:15], v[198:199], -v[14:15]
	v_add_f64 v[198:199], v[22:23], v[176:177]
	v_add_f64 v[10:11], v[10:11], -v[208:209]
	v_add_f64 v[12:13], v[12:13], -v[210:211]
	v_add_f64 v[208:209], v[196:197], v[200:201]
	v_add_f64 v[196:197], v[200:201], -v[196:197]
	v_add_f64 v[200:201], v[180:181], v[178:179]
	v_add_f64 v[210:211], v[22:23], -v[176:177]
	v_add_f64 v[176:177], v[176:177], -v[182:183]
	;; [unrolled: 1-line block ×3, first 2 shown]
	v_add_f64 v[182:183], v[182:183], v[198:199]
	v_add_f64 v[198:199], v[208:209], v[200:201]
	;; [unrolled: 1-line block ×3, first 2 shown]
	v_add_f64 v[8:9], v[8:9], -v[212:213]
	v_add_f64 v[212:213], v[180:181], -v[178:179]
	;; [unrolled: 1-line block ×4, first 2 shown]
	v_add_f64 v[216:217], v[14:15], v[10:11]
	v_add_f64 v[218:219], v[196:197], v[12:13]
	v_add_f64 v[220:221], v[14:15], -v[10:11]
	v_add_f64 v[222:223], v[196:197], -v[12:13]
	;; [unrolled: 1-line block ×3, first 2 shown]
	v_add_f64 v[174:175], v[174:175], v[198:199]
	v_mov_b64_e32 v[224:225], v[172:173]
	v_add_f64 v[14:15], v[6:7], -v[14:15]
	v_add_f64 v[196:197], v[8:9], -v[196:197]
	v_add_f64 v[12:13], v[12:13], -v[8:9]
	v_add_f64 v[6:7], v[216:217], v[6:7]
	v_add_f64 v[8:9], v[218:219], v[8:9]
	v_mul_f64 v[176:177], v[176:177], s[8:9]
	v_mul_f64 v[178:179], v[178:179], s[8:9]
	;; [unrolled: 1-line block ×7, first 2 shown]
	v_fmac_f64_e32 v[224:225], s[14:15], v[182:183]
	v_mov_b64_e32 v[182:183], v[174:175]
	v_fmac_f64_e32 v[182:183], s[14:15], v[198:199]
	v_fma_f64 v[198:199], v[210:211], s[16:17], -v[200:201]
	v_fma_f64 v[200:201], v[212:213], s[16:17], -v[208:209]
	;; [unrolled: 1-line block ×3, first 2 shown]
	v_fmac_f64_e32 v[176:177], s[0:1], v[22:23]
	v_fma_f64 v[22:23], v[212:213], s[18:19], -v[178:179]
	v_fmac_f64_e32 v[178:179], s[0:1], v[180:181]
	v_fma_f64 v[210:211], v[10:11], s[10:11], -v[216:217]
	;; [unrolled: 2-line block ×3, first 2 shown]
	v_fma_f64 v[14:15], v[14:15], s[24:25], -v[220:221]
	v_mul_f64 v[222:223], v[12:13], s[10:11]
	v_add_f64 v[198:199], v[198:199], v[224:225]
	v_add_f64 v[22:23], v[22:23], v[182:183]
	v_fmac_f64_e32 v[180:181], s[22:23], v[8:9]
	v_fmac_f64_e32 v[14:15], s[22:23], v[6:7]
	;; [unrolled: 1-line block ×3, first 2 shown]
	v_fma_f64 v[196:197], v[196:197], s[24:25], -v[222:223]
	v_add_f64 v[212:213], v[176:177], v[224:225]
	v_add_f64 v[200:201], v[200:201], v[182:183]
	v_fmac_f64_e32 v[210:211], s[22:23], v[6:7]
	v_add_f64 v[12:13], v[22:23], -v[14:15]
	v_add_f64 v[176:177], v[198:199], -v[180:181]
	v_add_f64 v[180:181], v[180:181], v[198:199]
	v_add_f64 v[198:199], v[14:15], v[22:23]
	;; [unrolled: 1-line block ×4, first 2 shown]
	v_add_f64 v[2:3], v[2:3], -v[30:31]
	v_add_f64 v[30:31], v[192:193], -v[214:215]
	v_add_f64 v[192:193], v[194:195], v[26:27]
	v_add_f64 v[220:221], v[178:179], v[182:183]
	;; [unrolled: 1-line block ×3, first 2 shown]
	v_fmac_f64_e32 v[218:219], s[22:23], v[8:9]
	v_fmac_f64_e32 v[196:197], s[22:23], v[8:9]
	v_add_f64 v[178:179], v[210:211], v[200:201]
	v_add_f64 v[182:183], v[200:201], -v[210:211]
	v_add_f64 v[200:201], v[184:185], v[28:29]
	v_add_f64 v[28:29], v[184:185], -v[28:29]
	;; [unrolled: 2-line block ×3, first 2 shown]
	v_add_f64 v[204:205], v[192:193], v[14:15]
	v_fmac_f64_e32 v[216:217], s[22:23], v[6:7]
	v_add_f64 v[6:7], v[218:219], v[212:213]
	v_add_f64 v[10:11], v[196:197], v[208:209]
	v_add_f64 v[196:197], v[208:209], -v[196:197]
	v_add_f64 v[208:209], v[212:213], -v[218:219]
	;; [unrolled: 1-line block ×3, first 2 shown]
	v_add_f64 v[194:195], v[202:203], v[206:207]
	v_add_f64 v[202:203], v[206:207], -v[202:203]
	v_add_f64 v[206:207], v[200:201], v[22:23]
	v_add_f64 v[212:213], v[192:193], -v[14:15]
	v_add_f64 v[14:15], v[14:15], -v[184:185]
	;; [unrolled: 1-line block ×3, first 2 shown]
	v_add_f64 v[184:185], v[184:185], v[204:205]
	v_add_f64 v[214:215], v[200:201], -v[22:23]
	v_add_f64 v[22:23], v[22:23], -v[194:195]
	;; [unrolled: 1-line block ×3, first 2 shown]
	v_add_f64 v[194:195], v[194:195], v[206:207]
	v_add_f64 v[168:169], v[168:169], v[184:185]
	v_add_f64 v[8:9], v[220:221], -v[216:217]
	v_add_f64 v[210:211], v[216:217], v[220:221]
	v_add_f64 v[216:217], v[186:187], v[26:27]
	;; [unrolled: 1-line block ×3, first 2 shown]
	v_add_f64 v[220:221], v[186:187], -v[26:27]
	v_add_f64 v[26:27], v[26:27], -v[2:3]
	v_add_f64 v[170:171], v[170:171], v[194:195]
	v_mov_b64_e32 v[224:225], v[168:169]
	v_add_f64 v[222:223], v[202:203], -v[28:29]
	v_add_f64 v[186:187], v[2:3], -v[186:187]
	;; [unrolled: 1-line block ×4, first 2 shown]
	v_add_f64 v[30:31], v[218:219], v[30:31]
	v_mul_f64 v[14:15], v[14:15], s[8:9]
	v_mul_f64 v[22:23], v[22:23], s[8:9]
	;; [unrolled: 1-line block ×6, first 2 shown]
	v_fmac_f64_e32 v[224:225], s[14:15], v[184:185]
	v_mov_b64_e32 v[184:185], v[170:171]
	v_add_f64 v[2:3], v[216:217], v[2:3]
	v_mul_f64 v[216:217], v[222:223], s[12:13]
	v_fmac_f64_e32 v[184:185], s[14:15], v[194:195]
	v_fma_f64 v[194:195], v[212:213], s[16:17], -v[204:205]
	v_fma_f64 v[204:205], v[214:215], s[16:17], -v[206:207]
	;; [unrolled: 1-line block ×3, first 2 shown]
	v_fmac_f64_e32 v[14:15], s[0:1], v[192:193]
	v_fma_f64 v[192:193], v[214:215], s[18:19], -v[22:23]
	v_fma_f64 v[26:27], v[26:27], s[10:11], -v[218:219]
	v_fmac_f64_e32 v[218:219], s[20:21], v[186:187]
	v_fma_f64 v[214:215], v[186:187], s[24:25], -v[220:221]
	v_mul_f64 v[222:223], v[28:29], s[10:11]
	v_fmac_f64_e32 v[22:23], s[0:1], v[200:201]
	v_fma_f64 v[28:29], v[28:29], s[10:11], -v[216:217]
	v_fmac_f64_e32 v[216:217], s[20:21], v[202:203]
	v_fmac_f64_e32 v[218:219], s[22:23], v[2:3]
	v_fmac_f64_e32 v[26:27], s[22:23], v[2:3]
	v_fmac_f64_e32 v[214:215], s[22:23], v[2:3]
	v_mul_u32_u24_e32 v2, 0xfc, v17
	v_fma_f64 v[212:213], v[202:203], s[24:25], -v[222:223]
	v_add_f64 v[14:15], v[14:15], v[224:225]
	v_add_f64 v[22:23], v[22:23], v[184:185]
	;; [unrolled: 1-line block ×4, first 2 shown]
	v_fmac_f64_e32 v[216:217], s[22:23], v[30:31]
	v_fmac_f64_e32 v[28:29], s[22:23], v[30:31]
	v_add_lshl_u32 v17, v2, v19, 4
	v_mul_u32_u24_e32 v2, 0xfc, v24
	v_add_f64 v[224:225], v[206:207], v[224:225]
	v_add_f64 v[226:227], v[192:193], v[184:185]
	v_fmac_f64_e32 v[212:213], s[22:23], v[30:31]
	v_add_f64 v[184:185], v[216:217], v[14:15]
	v_add_f64 v[186:187], v[22:23], -v[218:219]
	v_add_f64 v[200:201], v[220:221], -v[28:29]
	v_add_f64 v[202:203], v[26:27], v[222:223]
	v_add_f64 v[204:205], v[28:29], v[220:221]
	v_add_f64 v[216:217], v[14:15], -v[216:217]
	v_add_f64 v[218:219], v[218:219], v[22:23]
	v_add_lshl_u32 v19, v2, v25, 4
	v_mad_u64_u32 v[28:29], s[26:27], v18, s26, v[4:5]
	v_add_f64 v[192:193], v[212:213], v[224:225]
	v_add_f64 v[194:195], v[226:227], -v[214:215]
	v_add_f64 v[206:207], v[222:223], -v[26:27]
	;; [unrolled: 1-line block ×3, first 2 shown]
	v_add_f64 v[214:215], v[214:215], v[226:227]
	ds_write_b128 v17, v[172:175]
	ds_write_b128 v17, v[6:9] offset:576
	ds_write_b128 v17, v[10:13] offset:1152
	;; [unrolled: 1-line block ×6, first 2 shown]
	ds_write_b128 v19, v[168:171]
	ds_write_b128 v19, v[184:187] offset:576
	ds_write_b128 v19, v[192:195] offset:1152
	;; [unrolled: 1-line block ×6, first 2 shown]
	s_waitcnt lgkmcnt(0)
	s_barrier
	ds_read_b128 v[224:227], v16
	ds_read_b128 v[6:9], v16 offset:4032
	ds_read_b128 v[10:13], v16 offset:8064
	;; [unrolled: 1-line block ×13, first 2 shown]
	global_load_dwordx4 v[168:171], v[28:29], off offset:4048
	global_load_dwordx4 v[172:175], v[28:29], off offset:4032
	;; [unrolled: 1-line block ×4, first 2 shown]
	s_mov_b64 s[26:27], 0x2f40
	s_waitcnt vmcnt(3) lgkmcnt(9)
	v_mul_f64 v[14:15], v[182:183], v[170:171]
	v_mul_f64 v[244:245], v[180:181], v[170:171]
	v_fma_f64 v[14:15], v[180:181], v[168:169], -v[14:15]
	v_fmac_f64_e32 v[244:245], v[182:183], v[168:169]
	global_load_dwordx4 v[180:183], v[28:29], off offset:4080
	global_load_dwordx4 v[192:195], v[28:29], off offset:4064
	s_waitcnt vmcnt(2)
	v_mul_f64 v[2:3], v[8:9], v[186:187]
	v_fma_f64 v[2:3], v[6:7], v[184:185], -v[2:3]
	v_mul_f64 v[4:5], v[6:7], v[186:187]
	v_mul_f64 v[6:7], v[12:13], v[178:179]
	v_fmac_f64_e32 v[4:5], v[8:9], v[184:185]
	v_fma_f64 v[6:7], v[10:11], v[176:177], -v[6:7]
	v_mul_f64 v[8:9], v[10:11], v[178:179]
	v_mul_f64 v[10:11], v[24:25], v[174:175]
	v_fmac_f64_e32 v[8:9], v[12:13], v[176:177]
	v_fma_f64 v[10:11], v[22:23], v[172:173], -v[10:11]
	v_mul_f64 v[12:13], v[22:23], v[174:175]
	v_fmac_f64_e32 v[12:13], v[24:25], v[172:173]
	v_lshl_add_u64 v[28:29], v[28:29], 0, s[26:27]
	s_waitcnt vmcnt(1) lgkmcnt(7)
	v_mul_f64 v[24:25], v[198:199], v[182:183]
	s_waitcnt vmcnt(0)
	v_mul_f64 v[22:23], v[202:203], v[194:195]
	v_fma_f64 v[254:255], v[200:201], v[192:193], -v[22:23]
	v_mul_f64 v[22:23], v[200:201], v[194:195]
	v_mul_f64 v[26:27], v[196:197], v[182:183]
	v_fmac_f64_e32 v[22:23], v[202:203], v[192:193]
	v_fma_f64 v[24:25], v[196:197], v[180:181], -v[24:25]
	v_fmac_f64_e32 v[26:27], v[198:199], v[180:181]
	global_load_dwordx4 v[196:199], v[28:29], off offset:4048
	global_load_dwordx4 v[200:203], v[28:29], off offset:4032
	;; [unrolled: 1-line block ×4, first 2 shown]
	s_waitcnt vmcnt(3) lgkmcnt(2)
	v_mul_f64 v[252:253], v[208:209], v[198:199]
	s_waitcnt vmcnt(2)
	v_mul_f64 v[248:249], v[216:217], v[202:203]
	v_fmac_f64_e32 v[248:249], v[218:219], v[200:201]
	s_waitcnt vmcnt(0)
	v_mul_f64 v[30:31], v[242:243], v[214:215]
	v_fma_f64 v[246:247], v[240:241], v[212:213], -v[30:31]
	v_mul_f64 v[240:241], v[240:241], v[214:215]
	v_mul_f64 v[30:31], v[238:239], v[206:207]
	v_fmac_f64_e32 v[240:241], v[242:243], v[212:213]
	v_fma_f64 v[242:243], v[236:237], v[204:205], -v[30:31]
	v_mul_f64 v[236:237], v[236:237], v[206:207]
	v_mul_f64 v[30:31], v[218:219], v[202:203]
	v_fmac_f64_e32 v[236:237], v[238:239], v[204:205]
	v_fma_f64 v[238:239], v[216:217], v[200:201], -v[30:31]
	v_mul_f64 v[30:31], v[210:211], v[198:199]
	v_fma_f64 v[250:251], v[208:209], v[196:197], -v[30:31]
	v_fmac_f64_e32 v[252:253], v[210:211], v[196:197]
	global_load_dwordx4 v[208:211], v[28:29], off offset:4080
	global_load_dwordx4 v[216:219], v[28:29], off offset:4064
	s_waitcnt vmcnt(1) lgkmcnt(0)
	v_mul_f64 v[34:35], v[228:229], v[210:211]
	s_waitcnt vmcnt(0)
	v_mul_f64 v[28:29], v[234:235], v[218:219]
	v_fma_f64 v[28:29], v[232:233], v[216:217], -v[28:29]
	v_mul_f64 v[30:31], v[232:233], v[218:219]
	v_mul_f64 v[232:233], v[230:231], v[210:211]
	v_fma_f64 v[32:33], v[228:229], v[208:209], -v[232:233]
	v_add_f64 v[228:229], v[2:3], v[24:25]
	v_add_f64 v[2:3], v[2:3], -v[24:25]
	v_add_f64 v[24:25], v[6:7], v[254:255]
	v_fmac_f64_e32 v[34:35], v[230:231], v[208:209]
	v_add_f64 v[230:231], v[4:5], v[26:27]
	v_add_f64 v[4:5], v[4:5], -v[26:27]
	v_add_f64 v[26:27], v[8:9], v[22:23]
	v_add_f64 v[6:7], v[6:7], -v[254:255]
	v_add_f64 v[8:9], v[8:9], -v[22:23]
	v_add_f64 v[22:23], v[10:11], v[14:15]
	v_add_f64 v[10:11], v[14:15], -v[10:11]
	v_add_f64 v[14:15], v[24:25], v[228:229]
	v_fmac_f64_e32 v[30:31], v[234:235], v[216:217]
	v_add_f64 v[232:233], v[12:13], v[244:245]
	v_add_f64 v[12:13], v[244:245], -v[12:13]
	v_add_f64 v[234:235], v[26:27], v[230:231]
	v_add_f64 v[36:37], v[10:11], v[6:7]
	;; [unrolled: 1-line block ×3, first 2 shown]
	v_add_f64 v[244:245], v[24:25], -v[228:229]
	v_add_f64 v[228:229], v[228:229], -v[22:23]
	;; [unrolled: 1-line block ×3, first 2 shown]
	v_add_f64 v[38:39], v[12:13], v[8:9]
	v_add_f64 v[40:41], v[10:11], -v[6:7]
	v_add_f64 v[10:11], v[2:3], -v[10:11]
	;; [unrolled: 1-line block ×3, first 2 shown]
	v_add_f64 v[22:23], v[232:233], v[234:235]
	v_add_f64 v[36:37], v[36:37], v[2:3]
	;; [unrolled: 1-line block ×3, first 2 shown]
	v_add_f64 v[254:255], v[26:27], -v[230:231]
	v_add_f64 v[230:231], v[230:231], -v[232:233]
	;; [unrolled: 1-line block ×6, first 2 shown]
	v_add_f64 v[38:39], v[38:39], v[4:5]
	v_add_f64 v[4:5], v[226:227], v[22:23]
	v_mov_b64_e32 v[44:45], v[2:3]
	v_mul_f64 v[224:225], v[228:229], s[8:9]
	v_mul_f64 v[226:227], v[230:231], s[8:9]
	;; [unrolled: 1-line block ×6, first 2 shown]
	v_fmac_f64_e32 v[44:45], s[14:15], v[14:15]
	v_mov_b64_e32 v[14:15], v[4:5]
	v_mul_f64 v[40:41], v[40:41], s[12:13]
	v_mul_f64 v[234:235], v[8:9], s[10:11]
	v_fmac_f64_e32 v[14:15], s[14:15], v[22:23]
	v_fma_f64 v[22:23], v[244:245], s[16:17], -v[228:229]
	v_fma_f64 v[46:47], v[254:255], s[16:17], -v[230:231]
	;; [unrolled: 1-line block ×3, first 2 shown]
	v_fmac_f64_e32 v[224:225], s[0:1], v[24:25]
	v_fma_f64 v[24:25], v[254:255], s[18:19], -v[226:227]
	v_fmac_f64_e32 v[226:227], s[0:1], v[26:27]
	v_fma_f64 v[230:231], v[8:9], s[10:11], -v[42:43]
	v_fma_f64 v[232:233], v[10:11], s[24:25], -v[232:233]
	;; [unrolled: 1-line block ×3, first 2 shown]
	v_fmac_f64_e32 v[40:41], s[20:21], v[10:11]
	v_fma_f64 v[234:235], v[12:13], s[24:25], -v[234:235]
	v_add_f64 v[244:245], v[224:225], v[44:45]
	v_add_f64 v[254:255], v[226:227], v[14:15]
	;; [unrolled: 1-line block ×5, first 2 shown]
	v_fmac_f64_e32 v[230:231], s[22:23], v[38:39]
	v_fmac_f64_e32 v[232:233], s[22:23], v[36:37]
	;; [unrolled: 1-line block ×3, first 2 shown]
	v_add_f64 v[44:45], v[228:229], v[44:45]
	v_fmac_f64_e32 v[40:41], s[22:23], v[36:37]
	v_fmac_f64_e32 v[26:27], s[22:23], v[36:37]
	;; [unrolled: 1-line block ×3, first 2 shown]
	v_add_f64 v[12:13], v[14:15], -v[232:233]
	v_add_f64 v[22:23], v[224:225], -v[230:231]
	v_add_f64 v[224:225], v[230:231], v[224:225]
	v_add_f64 v[230:231], v[232:233], v[14:15]
	;; [unrolled: 1-line block ×4, first 2 shown]
	v_fmac_f64_e32 v[42:43], s[22:23], v[38:39]
	v_add_f64 v[8:9], v[254:255], -v[40:41]
	v_add_f64 v[10:11], v[234:235], v[44:45]
	v_add_f64 v[24:25], v[26:27], v[46:47]
	v_add_f64 v[226:227], v[46:47], -v[26:27]
	v_add_f64 v[228:229], v[44:45], -v[234:235]
	v_add_f64 v[234:235], v[40:41], v[254:255]
	v_add_f64 v[26:27], v[240:241], v[34:35]
	;; [unrolled: 1-line block ×3, first 2 shown]
	v_add_f64 v[30:31], v[236:237], -v[30:31]
	v_add_f64 v[40:41], v[238:239], v[250:251]
	v_add_f64 v[236:237], v[36:37], v[14:15]
	;; [unrolled: 1-line block ×3, first 2 shown]
	v_add_f64 v[232:233], v[244:245], -v[42:43]
	v_add_f64 v[34:35], v[240:241], -v[34:35]
	;; [unrolled: 1-line block ×3, first 2 shown]
	v_add_f64 v[42:43], v[248:249], v[252:253]
	v_add_f64 v[44:45], v[250:251], -v[238:239]
	v_add_f64 v[46:47], v[252:253], -v[248:249]
	v_add_f64 v[238:239], v[38:39], v[26:27]
	v_add_f64 v[240:241], v[36:37], -v[14:15]
	v_add_f64 v[14:15], v[14:15], -v[40:41]
	v_add_f64 v[36:37], v[40:41], -v[36:37]
	v_add_f64 v[40:41], v[40:41], v[236:237]
	v_add_f64 v[32:33], v[246:247], -v[32:33]
	v_add_f64 v[242:243], v[38:39], -v[26:27]
	;; [unrolled: 1-line block ×4, first 2 shown]
	v_add_f64 v[244:245], v[44:45], v[28:29]
	v_add_f64 v[246:247], v[46:47], v[30:31]
	v_add_f64 v[248:249], v[44:45], -v[28:29]
	v_add_f64 v[250:251], v[46:47], -v[30:31]
	;; [unrolled: 1-line block ×3, first 2 shown]
	v_add_f64 v[42:43], v[42:43], v[238:239]
	v_add_f64 v[220:221], v[220:221], v[40:41]
	v_add_f64 v[44:45], v[32:33], -v[44:45]
	v_add_f64 v[46:47], v[34:35], -v[46:47]
	;; [unrolled: 1-line block ×3, first 2 shown]
	v_add_f64 v[32:33], v[244:245], v[32:33]
	v_add_f64 v[34:35], v[246:247], v[34:35]
	;; [unrolled: 1-line block ×3, first 2 shown]
	v_mul_f64 v[14:15], v[14:15], s[8:9]
	v_mul_f64 v[244:245], v[248:249], s[12:13]
	;; [unrolled: 1-line block ×4, first 2 shown]
	v_mov_b64_e32 v[248:249], v[220:221]
	v_mul_f64 v[26:27], v[26:27], s[8:9]
	v_mul_f64 v[236:237], v[36:37], s[0:1]
	;; [unrolled: 1-line block ×4, first 2 shown]
	v_fmac_f64_e32 v[248:249], s[14:15], v[40:41]
	v_mov_b64_e32 v[40:41], v[222:223]
	v_fma_f64 v[36:37], s[0:1], v[36:37], v[14:15]
	v_fma_f64 v[14:15], v[240:241], s[18:19], -v[14:15]
	v_fma_f64 v[30:31], v[30:31], s[10:11], -v[48:49]
	v_fmac_f64_e32 v[48:49], s[20:21], v[46:47]
	v_fma_f64 v[46:47], v[46:47], s[24:25], -v[246:247]
	v_fmac_f64_e32 v[40:41], s[14:15], v[42:43]
	v_fma_f64 v[42:43], v[240:241], s[16:17], -v[236:237]
	v_fma_f64 v[236:237], v[242:243], s[16:17], -v[238:239]
	;; [unrolled: 1-line block ×3, first 2 shown]
	v_fmac_f64_e32 v[26:27], s[0:1], v[38:39]
	v_fma_f64 v[38:39], s[20:21], v[44:45], v[244:245]
	v_fma_f64 v[28:29], v[28:29], s[10:11], -v[244:245]
	v_fma_f64 v[44:45], v[44:45], s[24:25], -v[50:51]
	v_add_f64 v[14:15], v[14:15], v[248:249]
	v_fmac_f64_e32 v[46:47], s[22:23], v[34:35]
	s_mov_b64 s[0:1], 0x6e40
	v_add_f64 v[36:37], v[36:37], v[248:249]
	v_add_f64 v[50:51], v[26:27], v[40:41]
	;; [unrolled: 1-line block ×5, first 2 shown]
	v_fmac_f64_e32 v[38:39], s[22:23], v[32:33]
	v_fmac_f64_e32 v[48:49], s[22:23], v[34:35]
	;; [unrolled: 1-line block ×5, first 2 shown]
	v_add_f64 v[240:241], v[46:47], v[14:15]
	v_add_f64 v[252:253], v[14:15], -v[46:47]
	v_lshl_add_u64 v[14:15], v[0:1], 0, s[0:1]
	s_movk_i32 s0, 0x6000
	v_add_f64 v[236:237], v[48:49], v[36:37]
	v_add_f64 v[238:239], v[50:51], -v[38:39]
	v_add_f64 v[242:243], v[40:41], -v[44:45]
	;; [unrolled: 1-line block ×3, first 2 shown]
	v_add_f64 v[246:247], v[28:29], v[42:43]
	v_add_f64 v[248:249], v[30:31], v[26:27]
	v_add_f64 v[250:251], v[42:43], -v[28:29]
	v_add_f64 v[254:255], v[44:45], v[40:41]
	v_add_f64 v[26:27], v[36:37], -v[48:49]
	v_add_f64 v[28:29], v[38:39], v[50:51]
	ds_write_b128 v16, v[2:5]
	ds_write_b128 v16, v[6:9] offset:4032
	ds_write_b128 v16, v[10:13] offset:8064
	;; [unrolled: 1-line block ×13, first 2 shown]
	v_add_co_u32_e64 v6, s[0:1], s0, v0
	s_waitcnt lgkmcnt(0)
	s_nop 0
	v_addc_co_u32_e64 v7, s[0:1], 0, v1, s[0:1]
	s_barrier
	global_load_dwordx4 v[6:9], v[6:7], off offset:3648
	ds_read_b128 v[2:5], v16
	ds_read_b128 v[220:223], v16 offset:26208
	s_mov_b32 s0, 0xa000
	v_add_co_u32_e64 v22, s[0:1], s0, v0
	v_accvgpr_read_b32 v30, a53
	s_nop 0
	v_addc_co_u32_e64 v23, s[0:1], 0, v1, s[0:1]
	s_mov_b32 s0, 0xb000
	s_waitcnt vmcnt(0) lgkmcnt(1)
	v_mul_f64 v[10:11], v[4:5], v[8:9]
	v_mul_f64 v[12:13], v[2:3], v[8:9]
	v_fma_f64 v[10:11], v[2:3], v[6:7], -v[10:11]
	v_fmac_f64_e32 v[12:13], v[4:5], v[6:7]
	global_load_dwordx4 v[6:9], v[22:23], off offset:1376
	ds_read_b128 v[2:5], v16 offset:14112
	ds_write_b128 v16, v[10:13]
	s_waitcnt vmcnt(0) lgkmcnt(1)
	v_mul_f64 v[10:11], v[4:5], v[8:9]
	v_mul_f64 v[12:13], v[2:3], v[8:9]
	v_fma_f64 v[10:11], v[2:3], v[6:7], -v[10:11]
	v_fmac_f64_e32 v[12:13], v[4:5], v[6:7]
	global_load_dwordx4 v[6:9], v[14:15], off offset:2016
	ds_read_b128 v[2:5], v16 offset:2016
	ds_write_b128 v16, v[10:13] offset:14112
	s_waitcnt vmcnt(0) lgkmcnt(1)
	v_mul_f64 v[10:11], v[4:5], v[8:9]
	v_mul_f64 v[12:13], v[2:3], v[8:9]
	v_fma_f64 v[10:11], v[2:3], v[6:7], -v[10:11]
	v_fmac_f64_e32 v[12:13], v[4:5], v[6:7]
	global_load_dwordx4 v[6:9], v[22:23], off offset:3392
	ds_read_b128 v[2:5], v16 offset:16128
	ds_write_b128 v16, v[10:13] offset:2016
	s_waitcnt vmcnt(0) lgkmcnt(1)
	v_mul_f64 v[10:11], v[4:5], v[8:9]
	v_mul_f64 v[12:13], v[2:3], v[8:9]
	v_fma_f64 v[10:11], v[2:3], v[6:7], -v[10:11]
	v_fmac_f64_e32 v[12:13], v[4:5], v[6:7]
	global_load_dwordx4 v[6:9], v[14:15], off offset:4032
	ds_read_b128 v[2:5], v16 offset:4032
	v_add_co_u32_e64 v14, s[0:1], s0, v0
	ds_write_b128 v16, v[10:13] offset:16128
	s_nop 0
	v_addc_co_u32_e64 v15, s[0:1], 0, v1, s[0:1]
	s_mov_b32 s0, 0x8000
	s_nop 0
	v_add_co_u32_e64 v22, s[0:1], s0, v0
	s_waitcnt vmcnt(0) lgkmcnt(1)
	v_mul_f64 v[10:11], v[4:5], v[8:9]
	v_mul_f64 v[12:13], v[2:3], v[8:9]
	v_fma_f64 v[10:11], v[2:3], v[6:7], -v[10:11]
	v_fmac_f64_e32 v[12:13], v[4:5], v[6:7]
	global_load_dwordx4 v[6:9], v[14:15], off offset:1312
	ds_read_b128 v[2:5], v16 offset:18144
	ds_write_b128 v16, v[10:13] offset:4032
	v_addc_co_u32_e64 v23, s[0:1], 0, v1, s[0:1]
	s_mov_b32 s0, 0xc000
	s_waitcnt vmcnt(0) lgkmcnt(1)
	v_mul_f64 v[10:11], v[4:5], v[8:9]
	v_mul_f64 v[12:13], v[2:3], v[8:9]
	v_fma_f64 v[10:11], v[2:3], v[6:7], -v[10:11]
	v_fmac_f64_e32 v[12:13], v[4:5], v[6:7]
	global_load_dwordx4 v[6:9], v[22:23], off offset:1504
	ds_read_b128 v[2:5], v16 offset:6048
	ds_write_b128 v16, v[10:13] offset:18144
	s_waitcnt vmcnt(0) lgkmcnt(1)
	v_mul_f64 v[10:11], v[4:5], v[8:9]
	v_mul_f64 v[12:13], v[2:3], v[8:9]
	v_fma_f64 v[10:11], v[2:3], v[6:7], -v[10:11]
	v_fmac_f64_e32 v[12:13], v[4:5], v[6:7]
	global_load_dwordx4 v[6:9], v[14:15], off offset:3328
	ds_read_b128 v[2:5], v16 offset:20160
	ds_write_b128 v16, v[10:13] offset:6048
	v_add_co_u32_e64 v14, s[0:1], s0, v0
	s_waitcnt vmcnt(0) lgkmcnt(1)
	v_mul_f64 v[10:11], v[4:5], v[8:9]
	v_mul_f64 v[12:13], v[2:3], v[8:9]
	v_fma_f64 v[10:11], v[2:3], v[6:7], -v[10:11]
	v_fmac_f64_e32 v[12:13], v[4:5], v[6:7]
	global_load_dwordx4 v[6:9], v[22:23], off offset:3520
	ds_read_b128 v[2:5], v16 offset:8064
	ds_write_b128 v16, v[10:13] offset:20160
	v_addc_co_u32_e64 v15, s[0:1], 0, v1, s[0:1]
	s_mov_b32 s0, 0x9000
	s_nop 0
	v_add_co_u32_e64 v22, s[0:1], s0, v0
	s_waitcnt vmcnt(0) lgkmcnt(1)
	v_mul_f64 v[10:11], v[4:5], v[8:9]
	v_mul_f64 v[12:13], v[2:3], v[8:9]
	v_fma_f64 v[10:11], v[2:3], v[6:7], -v[10:11]
	v_fmac_f64_e32 v[12:13], v[4:5], v[6:7]
	global_load_dwordx4 v[6:9], v[14:15], off offset:1248
	ds_read_b128 v[2:5], v16 offset:22176
	ds_write_b128 v16, v[10:13] offset:8064
	v_addc_co_u32_e64 v23, s[0:1], 0, v1, s[0:1]
	s_mov_b32 s0, 0xd000
	s_nop 0
	v_add_co_u32_e64 v0, s[0:1], s0, v0
	s_waitcnt vmcnt(0) lgkmcnt(1)
	v_mul_f64 v[10:11], v[4:5], v[8:9]
	v_mul_f64 v[12:13], v[2:3], v[8:9]
	v_fma_f64 v[10:11], v[2:3], v[6:7], -v[10:11]
	v_fmac_f64_e32 v[12:13], v[4:5], v[6:7]
	global_load_dwordx4 v[6:9], v[22:23], off offset:1440
	ds_read_b128 v[2:5], v16 offset:10080
	ds_write_b128 v16, v[10:13] offset:22176
	v_addc_co_u32_e64 v1, s[0:1], 0, v1, s[0:1]
	s_waitcnt vmcnt(0) lgkmcnt(1)
	v_mul_f64 v[10:11], v[4:5], v[8:9]
	v_mul_f64 v[12:13], v[2:3], v[8:9]
	v_fma_f64 v[10:11], v[2:3], v[6:7], -v[10:11]
	v_fmac_f64_e32 v[12:13], v[4:5], v[6:7]
	global_load_dwordx4 v[6:9], v[14:15], off offset:3264
	ds_read_b128 v[2:5], v16 offset:24192
	ds_write_b128 v16, v[10:13] offset:10080
	s_waitcnt vmcnt(0) lgkmcnt(1)
	v_mul_f64 v[10:11], v[4:5], v[8:9]
	v_mul_f64 v[12:13], v[2:3], v[8:9]
	v_fma_f64 v[10:11], v[2:3], v[6:7], -v[10:11]
	v_fmac_f64_e32 v[12:13], v[4:5], v[6:7]
	global_load_dwordx4 v[6:9], v[22:23], off offset:3456
	ds_read_b128 v[2:5], v16 offset:12096
	ds_write_b128 v16, v[10:13] offset:24192
	s_waitcnt vmcnt(0) lgkmcnt(1)
	v_mul_f64 v[10:11], v[4:5], v[8:9]
	v_fma_f64 v[10:11], v[2:3], v[6:7], -v[10:11]
	v_mul_f64 v[12:13], v[2:3], v[8:9]
	global_load_dwordx4 v[0:3], v[0:1], off offset:1184
	v_fmac_f64_e32 v[12:13], v[4:5], v[6:7]
	ds_write_b128 v16, v[10:13] offset:12096
	s_waitcnt vmcnt(0)
	v_mul_f64 v[4:5], v[222:223], v[2:3]
	v_mul_f64 v[6:7], v[220:221], v[2:3]
	v_fma_f64 v[4:5], v[220:221], v[0:1], -v[4:5]
	v_fmac_f64_e32 v[6:7], v[222:223], v[0:1]
	ds_write_b128 v16, v[4:7] offset:26208
	s_waitcnt lgkmcnt(0)
	s_barrier
	ds_read_b128 v[0:3], v16
	ds_read_b128 v[4:7], v16 offset:14112
	ds_read_b128 v[8:11], v16 offset:2016
	;; [unrolled: 1-line block ×13, first 2 shown]
	s_waitcnt lgkmcnt(12)
	v_add_f64 v[4:5], v[0:1], -v[4:5]
	v_add_f64 v[6:7], v[2:3], -v[6:7]
	v_fma_f64 v[0:1], v[0:1], 2.0, -v[4:5]
	v_fma_f64 v[2:3], v[2:3], 2.0, -v[6:7]
	s_waitcnt lgkmcnt(10)
	v_add_f64 v[12:13], v[8:9], -v[12:13]
	v_add_f64 v[14:15], v[10:11], -v[14:15]
	v_fma_f64 v[8:9], v[8:9], 2.0, -v[12:13]
	v_fma_f64 v[10:11], v[10:11], 2.0, -v[14:15]
	s_waitcnt lgkmcnt(8)
	v_add_f64 v[26:27], v[22:23], -v[26:27]
	v_add_f64 v[28:29], v[24:25], -v[28:29]
	s_waitcnt lgkmcnt(0)
	s_barrier
	ds_write_b128 v30, v[0:3]
	ds_write_b128 v30, v[4:7] offset:16
	v_accvgpr_read_b32 v0, a54
	v_fma_f64 v[22:23], v[22:23], 2.0, -v[26:27]
	v_fma_f64 v[24:25], v[24:25], 2.0, -v[28:29]
	v_add_f64 v[224:225], v[220:221], -v[224:225]
	v_add_f64 v[226:227], v[222:223], -v[226:227]
	ds_write_b128 v0, v[8:11]
	ds_write_b128 v0, v[12:15] offset:16
	v_accvgpr_read_b32 v0, a55
	v_fma_f64 v[220:221], v[220:221], 2.0, -v[224:225]
	v_fma_f64 v[222:223], v[222:223], 2.0, -v[226:227]
	v_add_f64 v[232:233], v[228:229], -v[232:233]
	v_add_f64 v[234:235], v[230:231], -v[234:235]
	;; [unrolled: 7-line block ×4, first 2 shown]
	ds_write_b128 v0, v[228:231]
	ds_write_b128 v0, v[232:235] offset:16
	v_accvgpr_read_b32 v0, a58
	v_fma_f64 v[244:245], v[244:245], 2.0, -v[248:249]
	v_fma_f64 v[246:247], v[246:247], 2.0, -v[250:251]
	ds_write_b128 v0, v[236:239]
	ds_write_b128 v0, v[240:243] offset:16
	v_accvgpr_read_b32 v0, a59
	ds_write_b128 v0, v[244:247]
	ds_write_b128 v0, v[248:251] offset:16
	s_waitcnt lgkmcnt(0)
	s_barrier
	ds_read_b128 v[0:3], v16
	ds_read_b128 v[4:7], v16 offset:14112
	ds_read_b128 v[8:11], v16 offset:2016
	;; [unrolled: 1-line block ×13, first 2 shown]
	s_waitcnt lgkmcnt(12)
	v_mul_f64 v[30:31], v[58:59], v[6:7]
	v_fmac_f64_e32 v[30:31], v[56:57], v[4:5]
	v_mul_f64 v[4:5], v[58:59], v[4:5]
	v_fma_f64 v[6:7], v[56:57], v[6:7], -v[4:5]
	s_waitcnt lgkmcnt(10)
	v_mul_f64 v[4:5], v[58:59], v[12:13]
	v_mul_f64 v[32:33], v[58:59], v[14:15]
	v_fma_f64 v[14:15], v[56:57], v[14:15], -v[4:5]
	s_waitcnt lgkmcnt(8)
	v_mul_f64 v[4:5], v[58:59], v[26:27]
	;; [unrolled: 4-line block ×3, first 2 shown]
	v_fma_f64 v[38:39], v[56:57], v[226:227], -v[4:5]
	s_waitcnt lgkmcnt(4)
	v_mul_f64 v[4:5], v[58:59], v[232:233]
	v_fma_f64 v[42:43], v[56:57], v[234:235], -v[4:5]
	s_waitcnt lgkmcnt(2)
	v_mul_f64 v[4:5], v[58:59], v[240:241]
	v_fma_f64 v[46:47], v[56:57], v[242:243], -v[4:5]
	s_waitcnt lgkmcnt(0)
	v_mul_f64 v[4:5], v[58:59], v[248:249]
	v_fmac_f64_e32 v[32:33], v[56:57], v[12:13]
	v_fma_f64 v[50:51], v[56:57], v[250:251], -v[4:5]
	v_add_f64 v[4:5], v[0:1], -v[30:31]
	v_add_f64 v[6:7], v[2:3], -v[6:7]
	v_fmac_f64_e32 v[34:35], v[56:57], v[26:27]
	v_mul_f64 v[36:37], v[58:59], v[226:227]
	v_fma_f64 v[0:1], v[0:1], 2.0, -v[4:5]
	v_fma_f64 v[2:3], v[2:3], 2.0, -v[6:7]
	v_add_f64 v[12:13], v[8:9], -v[32:33]
	v_add_f64 v[14:15], v[10:11], -v[14:15]
	v_accvgpr_read_b32 v30, a60
	v_fmac_f64_e32 v[36:37], v[56:57], v[224:225]
	v_mul_f64 v[40:41], v[58:59], v[234:235]
	v_fma_f64 v[8:9], v[8:9], 2.0, -v[12:13]
	v_fma_f64 v[10:11], v[10:11], 2.0, -v[14:15]
	v_add_f64 v[26:27], v[22:23], -v[34:35]
	v_add_f64 v[28:29], v[24:25], -v[28:29]
	s_barrier
	ds_write_b128 v30, v[0:3]
	ds_write_b128 v30, v[4:7] offset:32
	v_accvgpr_read_b32 v0, a61
	v_fmac_f64_e32 v[40:41], v[56:57], v[232:233]
	v_mul_f64 v[44:45], v[58:59], v[242:243]
	v_fma_f64 v[22:23], v[22:23], 2.0, -v[26:27]
	v_fma_f64 v[24:25], v[24:25], 2.0, -v[28:29]
	v_add_f64 v[224:225], v[220:221], -v[36:37]
	v_add_f64 v[226:227], v[222:223], -v[38:39]
	ds_write_b128 v0, v[8:11]
	ds_write_b128 v0, v[12:15] offset:32
	v_accvgpr_read_b32 v0, a62
	v_fmac_f64_e32 v[44:45], v[56:57], v[240:241]
	v_mul_f64 v[48:49], v[58:59], v[250:251]
	v_fma_f64 v[220:221], v[220:221], 2.0, -v[224:225]
	v_fma_f64 v[222:223], v[222:223], 2.0, -v[226:227]
	v_add_f64 v[232:233], v[228:229], -v[40:41]
	v_add_f64 v[234:235], v[230:231], -v[42:43]
	ds_write_b128 v0, v[22:25]
	ds_write_b128 v0, v[26:29] offset:32
	v_accvgpr_read_b32 v0, a63
	v_fmac_f64_e32 v[48:49], v[56:57], v[248:249]
	v_fma_f64 v[228:229], v[228:229], 2.0, -v[232:233]
	v_fma_f64 v[230:231], v[230:231], 2.0, -v[234:235]
	v_add_f64 v[240:241], v[236:237], -v[44:45]
	v_add_f64 v[242:243], v[238:239], -v[46:47]
	ds_write_b128 v0, v[220:223]
	ds_write_b128 v0, v[224:227] offset:32
	v_accvgpr_read_b32 v0, a64
	v_fma_f64 v[248:249], v[236:237], 2.0, -v[240:241]
	v_fma_f64 v[250:251], v[238:239], 2.0, -v[242:243]
	v_add_f64 v[236:237], v[244:245], -v[48:49]
	v_add_f64 v[238:239], v[246:247], -v[50:51]
	ds_write_b128 v0, v[228:231]
	ds_write_b128 v0, v[232:235] offset:32
	v_accvgpr_read_b32 v0, a65
	v_fma_f64 v[56:57], v[244:245], 2.0, -v[236:237]
	v_fma_f64 v[58:59], v[246:247], 2.0, -v[238:239]
	ds_write_b128 v0, v[248:251]
	ds_write_b128 v0, v[240:243] offset:32
	v_accvgpr_read_b32 v0, a66
	ds_write_b128 v0, v[56:59]
	ds_write_b128 v0, v[236:239] offset:32
	s_waitcnt lgkmcnt(0)
	s_barrier
	ds_read_b128 v[232:235], v16
	ds_read_b128 v[12:15], v16 offset:9408
	ds_read_b128 v[0:3], v16 offset:18816
	;; [unrolled: 1-line block ×11, first 2 shown]
	s_and_saveexec_b64 s[0:1], vcc
	s_cbranch_execz .LBB0_11
; %bb.10:
	ds_read_b128 v[56:59], v16 offset:8064
	ds_read_b128 v[236:239], v16 offset:17472
	;; [unrolled: 1-line block ×3, first 2 shown]
.LBB0_11:
	s_or_b64 exec, exec, s[0:1]
	s_waitcnt lgkmcnt(10)
	v_mul_f64 v[22:23], v[66:67], v[14:15]
	v_fmac_f64_e32 v[22:23], v[64:65], v[12:13]
	v_mul_f64 v[12:13], v[66:67], v[12:13]
	v_fma_f64 v[12:13], v[64:65], v[14:15], -v[12:13]
	s_waitcnt lgkmcnt(9)
	v_mul_f64 v[14:15], v[62:63], v[2:3]
	v_fmac_f64_e32 v[14:15], v[60:61], v[0:1]
	v_mul_f64 v[0:1], v[62:63], v[0:1]
	v_fma_f64 v[24:25], v[60:61], v[2:3], -v[0:1]
	v_accvgpr_read_b32 v2, a70
	v_accvgpr_read_b32 v3, a71
	s_waitcnt lgkmcnt(7)
	v_mul_f64 v[0:1], v[70:71], v[8:9]
	v_fma_f64 v[28:29], v[2:3], v[10:11], -v[0:1]
	s_waitcnt lgkmcnt(6)
	v_mul_f64 v[0:1], v[74:75], v[4:5]
	v_fma_f64 v[32:33], v[78:79], v[6:7], -v[0:1]
	;; [unrolled: 3-line block ×5, first 2 shown]
	v_accvgpr_read_b32 v0, a68
	v_accvgpr_read_b32 v1, a69
	s_waitcnt lgkmcnt(0)
	v_mul_f64 v[46:47], v[0:1], v[246:247]
	v_mul_f64 v[0:1], v[0:1], v[244:245]
	;; [unrolled: 1-line block ×3, first 2 shown]
	v_fma_f64 v[48:49], v[72:73], v[246:247], -v[0:1]
	v_mul_f64 v[0:1], v[66:67], v[236:237]
	v_fmac_f64_e32 v[26:27], v[2:3], v[8:9]
	v_mul_f64 v[30:31], v[74:75], v[6:7]
	v_mul_f64 v[34:35], v[66:67], v[254:255]
	;; [unrolled: 1-line block ×3, first 2 shown]
	v_fma_f64 v[66:67], v[64:65], v[238:239], -v[0:1]
	v_mul_f64 v[0:1], v[62:63], v[188:189]
	v_add_f64 v[2:3], v[22:23], v[14:15]
	s_mov_b32 s0, 0xe8584caa
	v_fmac_f64_e32 v[30:31], v[78:79], v[4:5]
	v_fma_f64 v[78:79], v[60:61], v[190:191], -v[0:1]
	v_add_f64 v[0:1], v[232:233], v[22:23]
	v_fmac_f64_e32 v[232:233], -0.5, v[2:3]
	v_add_f64 v[2:3], v[12:13], -v[24:25]
	s_mov_b32 s1, 0xbfebb67a
	s_mov_b32 s9, 0x3febb67a
	;; [unrolled: 1-line block ×3, first 2 shown]
	v_add_f64 v[6:7], v[12:13], v[24:25]
	v_mul_f64 v[38:39], v[62:63], v[242:243]
	v_fma_f64 v[4:5], s[0:1], v[2:3], v[232:233]
	v_fmac_f64_e32 v[232:233], s[8:9], v[2:3]
	v_add_f64 v[2:3], v[234:235], v[12:13]
	v_fmac_f64_e32 v[234:235], -0.5, v[6:7]
	v_add_f64 v[8:9], v[22:23], -v[14:15]
	v_add_f64 v[10:11], v[26:27], v[30:31]
	v_fmac_f64_e32 v[34:35], v[64:65], v[252:253]
	v_fmac_f64_e32 v[38:39], v[60:61], v[240:241]
	v_add_f64 v[0:1], v[0:1], v[14:15]
	v_fma_f64 v[6:7], s[8:9], v[8:9], v[234:235]
	v_fmac_f64_e32 v[234:235], s[0:1], v[8:9]
	v_add_f64 v[8:9], v[228:229], v[26:27]
	v_fmac_f64_e32 v[228:229], -0.5, v[10:11]
	v_add_f64 v[10:11], v[28:29], -v[32:33]
	v_add_f64 v[14:15], v[28:29], v[32:33]
	v_add_f64 v[2:3], v[2:3], v[24:25]
	v_fma_f64 v[12:13], s[0:1], v[10:11], v[228:229]
	v_fmac_f64_e32 v[228:229], s[8:9], v[10:11]
	v_add_f64 v[10:11], v[230:231], v[28:29]
	v_fmac_f64_e32 v[230:231], -0.5, v[14:15]
	v_add_f64 v[22:23], v[26:27], -v[30:31]
	v_add_f64 v[24:25], v[34:35], v[38:39]
	v_mul_f64 v[42:43], v[76:77], v[250:251]
	v_fma_f64 v[14:15], s[8:9], v[22:23], v[230:231]
	v_fmac_f64_e32 v[230:231], s[0:1], v[22:23]
	v_add_f64 v[22:23], v[224:225], v[34:35]
	v_fmac_f64_e32 v[224:225], -0.5, v[24:25]
	v_add_f64 v[24:25], v[36:37], -v[40:41]
	v_add_f64 v[28:29], v[36:37], v[40:41]
	v_fmac_f64_e32 v[42:43], v[68:69], v[248:249]
	v_add_f64 v[8:9], v[8:9], v[30:31]
	v_fma_f64 v[26:27], s[0:1], v[24:25], v[224:225]
	v_fmac_f64_e32 v[224:225], s[8:9], v[24:25]
	v_add_f64 v[24:25], v[226:227], v[36:37]
	v_fmac_f64_e32 v[226:227], -0.5, v[28:29]
	v_add_f64 v[30:31], v[34:35], -v[38:39]
	v_fmac_f64_e32 v[46:47], v[72:73], v[244:245]
	v_fma_f64 v[28:29], s[8:9], v[30:31], v[226:227]
	v_fmac_f64_e32 v[226:227], s[0:1], v[30:31]
	v_add_f64 v[30:31], v[220:221], v[42:43]
	v_add_f64 v[68:69], v[30:31], v[46:47]
	v_add_f64 v[30:31], v[42:43], v[46:47]
	v_fmac_f64_e32 v[220:221], -0.5, v[30:31]
	v_add_f64 v[30:31], v[44:45], -v[48:49]
	v_fma_f64 v[72:73], s[0:1], v[30:31], v[220:221]
	v_fmac_f64_e32 v[220:221], s[8:9], v[30:31]
	v_add_f64 v[30:31], v[222:223], v[44:45]
	v_add_f64 v[70:71], v[30:31], v[48:49]
	;; [unrolled: 1-line block ×3, first 2 shown]
	v_fmac_f64_e32 v[50:51], v[64:65], v[236:237]
	v_mul_f64 v[76:77], v[62:63], v[190:191]
	v_fmac_f64_e32 v[222:223], -0.5, v[30:31]
	v_add_f64 v[30:31], v[42:43], -v[46:47]
	v_fmac_f64_e32 v[76:77], v[60:61], v[188:189]
	v_fma_f64 v[74:75], s[8:9], v[30:31], v[222:223]
	v_fmac_f64_e32 v[222:223], s[0:1], v[30:31]
	v_add_f64 v[30:31], v[56:57], v[50:51]
	v_add_f64 v[60:61], v[30:31], v[76:77]
	;; [unrolled: 1-line block ×3, first 2 shown]
	v_fmac_f64_e32 v[56:57], -0.5, v[30:31]
	v_add_f64 v[30:31], v[66:67], -v[78:79]
	v_fma_f64 v[64:65], s[0:1], v[30:31], v[56:57]
	v_fmac_f64_e32 v[56:57], s[8:9], v[30:31]
	v_add_f64 v[30:31], v[58:59], v[66:67]
	v_add_f64 v[62:63], v[30:31], v[78:79]
	;; [unrolled: 1-line block ×3, first 2 shown]
	v_fmac_f64_e32 v[58:59], -0.5, v[30:31]
	v_add_f64 v[30:31], v[50:51], -v[76:77]
	v_fma_f64 v[66:67], s[8:9], v[30:31], v[58:59]
	v_fmac_f64_e32 v[58:59], s[0:1], v[30:31]
	v_accvgpr_read_b32 v30, a67
	v_add_f64 v[10:11], v[10:11], v[32:33]
	s_barrier
	ds_write_b128 v30, v[0:3]
	ds_write_b128 v30, v[4:7] offset:64
	ds_write_b128 v30, v[232:235] offset:128
	v_accvgpr_read_b32 v0, a72
	v_add_f64 v[22:23], v[22:23], v[38:39]
	v_add_f64 v[24:25], v[24:25], v[40:41]
	ds_write_b128 v0, v[8:11]
	ds_write_b128 v0, v[12:15] offset:64
	ds_write_b128 v0, v[228:231] offset:128
	v_accvgpr_read_b32 v0, a73
	ds_write_b128 v0, v[22:25]
	ds_write_b128 v0, v[26:29] offset:64
	ds_write_b128 v0, v[224:227] offset:128
	v_accvgpr_read_b32 v0, a74
	ds_write_b128 v0, v[68:71]
	ds_write_b128 v0, v[72:75] offset:64
	ds_write_b128 v0, v[220:223] offset:128
	s_and_saveexec_b64 s[0:1], vcc
	s_cbranch_execz .LBB0_13
; %bb.12:
	v_accvgpr_read_b32 v0, a75
	v_mul_u32_u24_e32 v0, 12, v0
	v_accvgpr_read_b32 v1, a52
	v_or_b32_e32 v0, v0, v1
	v_lshlrev_b32_e32 v0, 4, v0
	ds_write_b128 v0, v[60:63]
	ds_write_b128 v0, v[64:67] offset:64
	ds_write_b128 v0, v[56:59] offset:128
.LBB0_13:
	s_or_b64 exec, exec, s[0:1]
	s_waitcnt lgkmcnt(0)
	s_barrier
	ds_read_b128 v[188:191], v16
	ds_read_b128 v[76:79], v16 offset:2016
	ds_read_b128 v[232:235], v16 offset:9408
	;; [unrolled: 1-line block ×11, first 2 shown]
	s_and_saveexec_b64 s[0:1], vcc
	s_cbranch_execz .LBB0_15
; %bb.14:
	ds_read_b128 v[60:63], v16 offset:8064
	ds_read_b128 v[64:67], v16 offset:17472
	;; [unrolled: 1-line block ×3, first 2 shown]
.LBB0_15:
	s_or_b64 exec, exec, s[0:1]
	s_waitcnt lgkmcnt(1)
	v_mul_f64 v[40:41], v[106:107], v[2:3]
	v_mul_f64 v[22:23], v[94:95], v[234:235]
	;; [unrolled: 1-line block ×3, first 2 shown]
	v_fmac_f64_e32 v[40:41], v[104:105], v[0:1]
	v_mul_f64 v[0:1], v[106:107], v[0:1]
	v_fmac_f64_e32 v[22:23], v[92:93], v[232:233]
	v_mul_f64 v[24:25], v[94:95], v[232:233]
	;; [unrolled: 2-line block ×3, first 2 shown]
	v_mul_f64 v[32:33], v[98:99], v[6:7]
	v_fma_f64 v[42:43], v[104:105], v[2:3], -v[0:1]
	v_mul_f64 v[0:1], v[118:119], v[224:225]
	v_fma_f64 v[24:25], v[92:93], v[234:235], -v[24:25]
	v_fma_f64 v[28:29], v[88:89], v[230:231], -v[28:29]
	v_mul_f64 v[30:31], v[102:103], v[14:15]
	v_fmac_f64_e32 v[32:33], v[96:97], v[4:5]
	v_mul_f64 v[4:5], v[98:99], v[4:5]
	v_fma_f64 v[46:47], v[116:117], v[226:227], -v[0:1]
	s_waitcnt lgkmcnt(0)
	v_mul_f64 v[0:1], v[114:115], v[220:221]
	v_add_f64 v[2:3], v[22:23], v[26:27]
	s_mov_b32 s0, 0xe8584caa
	v_fmac_f64_e32 v[30:31], v[100:101], v[12:13]
	v_mul_f64 v[12:13], v[102:103], v[12:13]
	v_fma_f64 v[34:35], v[96:97], v[6:7], -v[4:5]
	v_mul_f64 v[36:37], v[110:111], v[10:11]
	v_mul_f64 v[4:5], v[110:111], v[8:9]
	v_fma_f64 v[50:51], v[112:113], v[222:223], -v[0:1]
	v_add_f64 v[0:1], v[188:189], v[22:23]
	v_fmac_f64_e32 v[188:189], -0.5, v[2:3]
	v_add_f64 v[2:3], v[24:25], -v[28:29]
	s_mov_b32 s1, 0xbfebb67a
	s_mov_b32 s8, s0
	v_add_f64 v[6:7], v[24:25], v[28:29]
	v_fma_f64 v[14:15], v[100:101], v[14:15], -v[12:13]
	v_fmac_f64_e32 v[36:37], v[108:109], v[8:9]
	v_fma_f64 v[38:39], v[108:109], v[10:11], -v[4:5]
	v_fma_f64 v[4:5], s[0:1], v[2:3], v[188:189]
	v_fmac_f64_e32 v[188:189], s[8:9], v[2:3]
	v_add_f64 v[2:3], v[190:191], v[24:25]
	v_fmac_f64_e32 v[190:191], -0.5, v[6:7]
	v_add_f64 v[8:9], v[22:23], -v[26:27]
	v_add_f64 v[10:11], v[30:31], v[32:33]
	v_fma_f64 v[6:7], s[8:9], v[8:9], v[190:191]
	v_fmac_f64_e32 v[190:191], s[0:1], v[8:9]
	v_add_f64 v[8:9], v[76:77], v[30:31]
	v_fmac_f64_e32 v[76:77], -0.5, v[10:11]
	v_add_f64 v[10:11], v[14:15], -v[34:35]
	v_fma_f64 v[12:13], s[0:1], v[10:11], v[76:77]
	v_fmac_f64_e32 v[76:77], s[8:9], v[10:11]
	v_add_f64 v[10:11], v[78:79], v[14:15]
	v_add_f64 v[14:15], v[14:15], v[34:35]
	v_fmac_f64_e32 v[78:79], -0.5, v[14:15]
	v_add_f64 v[22:23], v[30:31], -v[32:33]
	v_add_f64 v[24:25], v[36:37], v[40:41]
	v_mul_f64 v[44:45], v[118:119], v[226:227]
	v_add_f64 v[2:3], v[2:3], v[28:29]
	v_fma_f64 v[14:15], s[8:9], v[22:23], v[78:79]
	v_fmac_f64_e32 v[78:79], s[0:1], v[22:23]
	v_add_f64 v[22:23], v[72:73], v[36:37]
	v_fmac_f64_e32 v[72:73], -0.5, v[24:25]
	v_add_f64 v[24:25], v[38:39], -v[42:43]
	v_add_f64 v[28:29], v[38:39], v[42:43]
	v_fmac_f64_e32 v[44:45], v[116:117], v[224:225]
	v_mul_f64 v[48:49], v[114:115], v[222:223]
	v_add_f64 v[0:1], v[0:1], v[26:27]
	v_fma_f64 v[26:27], s[0:1], v[24:25], v[72:73]
	v_fmac_f64_e32 v[72:73], s[8:9], v[24:25]
	v_add_f64 v[24:25], v[74:75], v[38:39]
	v_fmac_f64_e32 v[74:75], -0.5, v[28:29]
	v_add_f64 v[30:31], v[36:37], -v[40:41]
	v_fmac_f64_e32 v[48:49], v[112:113], v[220:221]
	v_fma_f64 v[28:29], s[8:9], v[30:31], v[74:75]
	v_fmac_f64_e32 v[74:75], s[0:1], v[30:31]
	v_add_f64 v[30:31], v[68:69], v[44:45]
	v_add_f64 v[88:89], v[30:31], v[48:49]
	v_add_f64 v[30:31], v[44:45], v[48:49]
	v_fmac_f64_e32 v[68:69], -0.5, v[30:31]
	v_add_f64 v[30:31], v[46:47], -v[50:51]
	v_fma_f64 v[92:93], s[0:1], v[30:31], v[68:69]
	v_fmac_f64_e32 v[68:69], s[8:9], v[30:31]
	v_add_f64 v[30:31], v[70:71], v[46:47]
	v_add_f64 v[90:91], v[30:31], v[50:51]
	;; [unrolled: 1-line block ×3, first 2 shown]
	v_fmac_f64_e32 v[70:71], -0.5, v[30:31]
	v_add_f64 v[30:31], v[44:45], -v[48:49]
	v_fma_f64 v[94:95], s[8:9], v[30:31], v[70:71]
	v_fmac_f64_e32 v[70:71], s[0:1], v[30:31]
	v_accvgpr_read_b32 v30, a77
	v_add_f64 v[8:9], v[8:9], v[32:33]
	v_add_f64 v[10:11], v[10:11], v[34:35]
	s_barrier
	ds_write_b128 v30, v[0:3]
	ds_write_b128 v30, v[4:7] offset:192
	ds_write_b128 v30, v[188:191] offset:384
	v_accvgpr_read_b32 v0, a78
	v_add_f64 v[22:23], v[22:23], v[40:41]
	v_add_f64 v[24:25], v[24:25], v[42:43]
	ds_write_b128 v0, v[8:11]
	ds_write_b128 v0, v[12:15] offset:192
	ds_write_b128 v0, v[76:79] offset:384
	v_accvgpr_read_b32 v0, a79
	ds_write_b128 v0, v[22:25]
	ds_write_b128 v0, v[26:29] offset:192
	ds_write_b128 v0, v[72:75] offset:384
	ds_write_b128 v21, v[88:91]
	ds_write_b128 v21, v[92:95] offset:192
	ds_write_b128 v21, v[68:71] offset:384
	s_and_saveexec_b64 s[10:11], vcc
	s_cbranch_execz .LBB0_17
; %bb.16:
	v_mul_f64 v[0:1], v[86:87], v[64:65]
	v_fma_f64 v[4:5], v[84:85], v[66:67], -v[0:1]
	v_mul_f64 v[0:1], v[82:83], v[56:57]
	v_fma_f64 v[8:9], v[80:81], v[58:59], -v[0:1]
	v_mul_f64 v[12:13], v[86:87], v[66:67]
	v_mul_f64 v[14:15], v[82:83], v[58:59]
	v_add_f64 v[0:1], v[4:5], v[8:9]
	v_fmac_f64_e32 v[12:13], v[84:85], v[64:65]
	v_fmac_f64_e32 v[14:15], v[80:81], v[56:57]
	v_fma_f64 v[2:3], -0.5, v[0:1], v[62:63]
	v_add_f64 v[0:1], v[12:13], -v[14:15]
	v_fma_f64 v[6:7], s[0:1], v[0:1], v[2:3]
	v_fmac_f64_e32 v[2:3], s[8:9], v[0:1]
	v_add_f64 v[0:1], v[62:63], v[4:5]
	v_add_f64 v[10:11], v[0:1], v[8:9]
	;; [unrolled: 1-line block ×3, first 2 shown]
	v_fma_f64 v[0:1], -0.5, v[0:1], v[60:61]
	v_add_f64 v[8:9], v[4:5], -v[8:9]
	v_fma_f64 v[4:5], s[8:9], v[8:9], v[0:1]
	v_fmac_f64_e32 v[0:1], s[0:1], v[8:9]
	v_add_f64 v[8:9], v[60:61], v[12:13]
	v_accvgpr_read_b32 v12, a76
	v_add_f64 v[8:9], v[8:9], v[14:15]
	v_lshlrev_b32_e32 v12, 4, v12
	ds_write_b128 v12, v[8:11]
	ds_write_b128 v12, v[0:3] offset:192
	ds_write_b128 v12, v[4:7] offset:384
.LBB0_17:
	s_or_b64 exec, exec, s[10:11]
	s_waitcnt lgkmcnt(0)
	s_barrier
	ds_read_b128 v[6:9], v16
	ds_read_b128 v[56:59], v16 offset:2016
	ds_read_b128 v[10:13], v16 offset:4032
	;; [unrolled: 1-line block ×13, first 2 shown]
	s_waitcnt lgkmcnt(10)
	v_mul_f64 v[44:45], v[162:163], v[24:25]
	v_fmac_f64_e32 v[44:45], v[160:161], v[22:23]
	v_mul_f64 v[22:23], v[162:163], v[22:23]
	v_mul_f64 v[14:15], v[134:135], v[12:13]
	v_fma_f64 v[46:47], v[160:161], v[24:25], -v[22:23]
	s_waitcnt lgkmcnt(8)
	v_mul_f64 v[22:23], v[154:155], v[60:61]
	v_fmac_f64_e32 v[14:15], v[132:133], v[10:11]
	v_mul_f64 v[10:11], v[134:135], v[10:11]
	s_waitcnt lgkmcnt(5)
	v_mul_f64 v[34:35], v[122:123], v[72:73]
	s_waitcnt lgkmcnt(3)
	v_mul_f64 v[36:37], v[142:143], v[82:83]
	v_fma_f64 v[50:51], v[152:153], v[62:63], -v[22:23]
	v_mul_f64 v[22:23], v[150:151], v[68:69]
	v_fma_f64 v[10:11], v[132:133], v[12:13], -v[10:11]
	v_mul_f64 v[12:13], v[130:131], v[28:29]
	v_mul_f64 v[32:33], v[122:123], v[74:75]
	v_fma_f64 v[34:35], v[120:121], v[74:75], -v[34:35]
	v_fmac_f64_e32 v[36:37], v[140:141], v[80:81]
	v_mul_f64 v[38:39], v[142:143], v[80:81]
	v_fma_f64 v[74:75], v[148:149], v[70:71], -v[22:23]
	v_mul_f64 v[80:81], v[146:147], v[78:79]
	v_mul_f64 v[22:23], v[146:147], v[76:77]
	v_fmac_f64_e32 v[12:13], v[128:129], v[26:27]
	v_mul_f64 v[26:27], v[130:131], v[26:27]
	s_waitcnt lgkmcnt(1)
	v_mul_f64 v[40:41], v[138:139], v[90:91]
	v_fmac_f64_e32 v[80:81], v[144:145], v[76:77]
	v_fma_f64 v[76:77], v[144:145], v[78:79], -v[22:23]
	v_mul_f64 v[22:23], v[166:167], v[84:85]
	v_fma_f64 v[26:27], v[128:129], v[28:29], -v[26:27]
	v_mul_f64 v[28:29], v[126:127], v[66:67]
	v_fma_f64 v[38:39], v[140:141], v[82:83], -v[38:39]
	v_fmac_f64_e32 v[40:41], v[136:137], v[88:89]
	v_mul_f64 v[42:43], v[138:139], v[88:89]
	v_fma_f64 v[82:83], v[164:165], v[86:87], -v[22:23]
	s_waitcnt lgkmcnt(0)
	v_mul_f64 v[22:23], v[158:159], v[92:93]
	v_fmac_f64_e32 v[28:29], v[124:125], v[64:65]
	v_mul_f64 v[30:31], v[126:127], v[64:65]
	v_fmac_f64_e32 v[32:33], v[120:121], v[72:73]
	v_fma_f64 v[42:43], v[136:137], v[90:91], -v[42:43]
	v_mul_f64 v[78:79], v[166:167], v[86:87]
	v_fma_f64 v[86:87], v[156:157], v[94:95], -v[22:23]
	v_add_f64 v[22:23], v[14:15], v[40:41]
	v_add_f64 v[14:15], v[14:15], -v[40:41]
	v_add_f64 v[40:41], v[12:13], v[36:37]
	v_fma_f64 v[30:31], v[124:125], v[66:67], -v[30:31]
	v_mul_f64 v[48:49], v[154:155], v[62:63]
	v_add_f64 v[24:25], v[10:11], v[42:43]
	v_add_f64 v[10:11], v[10:11], -v[42:43]
	v_add_f64 v[42:43], v[26:27], v[38:39]
	v_add_f64 v[12:13], v[12:13], -v[36:37]
	;; [unrolled: 2-line block ×3, first 2 shown]
	v_add_f64 v[32:33], v[40:41], v[22:23]
	v_fmac_f64_e32 v[48:49], v[152:153], v[60:61]
	v_mul_f64 v[72:73], v[150:151], v[70:71]
	v_add_f64 v[26:27], v[26:27], -v[38:39]
	v_add_f64 v[38:39], v[30:31], v[34:35]
	v_add_f64 v[30:31], v[34:35], -v[30:31]
	v_add_f64 v[34:35], v[42:43], v[24:25]
	v_add_f64 v[60:61], v[28:29], v[12:13]
	;; [unrolled: 1-line block ×3, first 2 shown]
	v_mov_b32_e32 v0, s2
	v_mov_b32_e32 v1, s3
	v_mad_u64_u32 v[2:3], s[0:1], s6, v20, 0
	v_fmac_f64_e32 v[72:73], v[148:149], v[68:69]
	v_add_f64 v[62:63], v[30:31], v[26:27]
	v_add_f64 v[68:69], v[28:29], -v[12:13]
	v_add_f64 v[28:29], v[14:15], -v[28:29]
	;; [unrolled: 1-line block ×3, first 2 shown]
	v_add_f64 v[34:35], v[38:39], v[34:35]
	v_add_f64 v[14:15], v[60:61], v[14:15]
	;; [unrolled: 1-line block ×3, first 2 shown]
	s_mov_b32 s2, 0x37e14327
	s_mov_b32 s10, 0xe976ee23
	;; [unrolled: 1-line block ×3, first 2 shown]
	v_add_f64 v[64:65], v[40:41], -v[22:23]
	v_add_f64 v[66:67], v[42:43], -v[24:25]
	;; [unrolled: 1-line block ×7, first 2 shown]
	v_add_f64 v[10:11], v[62:63], v[10:11]
	v_add_f64 v[62:63], v[8:9], v[34:35]
	s_mov_b32 s3, 0x3fe948f6
	s_mov_b32 s0, 0x36b3c0b5
	;; [unrolled: 1-line block ×5, first 2 shown]
	v_mov_b64_e32 v[88:89], v[60:61]
	s_mov_b32 s14, 0x5476071b
	s_mov_b32 s18, 0xb247c609
	v_add_f64 v[40:41], v[36:37], -v[40:41]
	v_add_f64 v[42:43], v[38:39], -v[42:43]
	v_mul_f64 v[6:7], v[22:23], s[2:3]
	v_mul_f64 v[8:9], v[24:25], s[2:3]
	s_mov_b32 s1, 0x3fac98ee
	v_mul_f64 v[36:37], v[68:69], s[10:11]
	s_mov_b32 s9, 0xbfebfeb5
	v_fmac_f64_e32 v[88:89], s[12:13], v[32:33]
	v_mov_b64_e32 v[32:33], v[62:63]
	s_mov_b32 s15, 0x3fe77f67
	s_mov_b32 s17, 0xbfe77f67
	;; [unrolled: 1-line block ×5, first 2 shown]
	v_fmac_f64_e32 v[78:79], v[164:165], v[84:85]
	v_mul_f64 v[84:85], v[158:159], v[94:95]
	v_mul_f64 v[22:23], v[40:41], s[0:1]
	;; [unrolled: 1-line block ×6, first 2 shown]
	v_fmac_f64_e32 v[32:33], s[12:13], v[34:35]
	v_fma_f64 v[34:35], v[64:65], s[16:17], -v[6:7]
	v_fmac_f64_e32 v[6:7], s[0:1], v[40:41]
	v_fma_f64 v[40:41], v[66:67], s[16:17], -v[8:9]
	;; [unrolled: 2-line block ×3, first 2 shown]
	v_fmac_f64_e32 v[36:37], s[18:19], v[28:29]
	s_mov_b32 s23, 0x3fd5d0dc
	s_mov_b32 s22, s18
	;; [unrolled: 1-line block ×3, first 2 shown]
	v_fmac_f64_e32 v[84:85], v[156:157], v[92:93]
	v_fma_f64 v[22:23], v[64:65], s[14:15], -v[22:23]
	v_fma_f64 v[24:25], v[66:67], s[14:15], -v[24:25]
	;; [unrolled: 1-line block ×3, first 2 shown]
	v_fmac_f64_e32 v[38:39], s[18:19], v[30:31]
	v_fma_f64 v[66:67], v[28:29], s[22:23], -v[68:69]
	v_fma_f64 v[30:31], v[30:31], s[22:23], -v[70:71]
	v_add_f64 v[70:71], v[8:9], v[32:33]
	v_fmac_f64_e32 v[36:37], s[20:21], v[14:15]
	v_add_f64 v[68:69], v[6:7], v[88:89]
	v_add_f64 v[28:29], v[22:23], v[88:89]
	;; [unrolled: 1-line block ×5, first 2 shown]
	v_fmac_f64_e32 v[38:39], s[20:21], v[10:11]
	v_fmac_f64_e32 v[42:43], s[20:21], v[14:15]
	;; [unrolled: 1-line block ×5, first 2 shown]
	v_add_f64 v[8:9], v[70:71], -v[36:37]
	v_add_f64 v[70:71], v[36:37], v[70:71]
	v_add_f64 v[14:15], v[44:45], v[84:85]
	;; [unrolled: 1-line block ×5, first 2 shown]
	v_add_f64 v[12:13], v[32:33], -v[66:67]
	v_add_f64 v[22:23], v[28:29], -v[26:27]
	v_add_f64 v[24:25], v[42:43], v[64:65]
	v_add_f64 v[26:27], v[26:27], v[28:29]
	v_add_f64 v[28:29], v[64:65], -v[42:43]
	v_add_f64 v[64:65], v[34:35], -v[30:31]
	v_add_f64 v[66:67], v[66:67], v[32:33]
	v_add_f64 v[68:69], v[68:69], -v[38:39]
	v_add_f64 v[30:31], v[46:47], v[86:87]
	;; [unrolled: 2-line block ×5, first 2 shown]
	v_add_f64 v[34:35], v[46:47], -v[86:87]
	v_add_f64 v[42:43], v[50:51], -v[82:83]
	v_add_f64 v[46:47], v[74:75], v[76:77]
	v_add_f64 v[50:51], v[76:77], -v[74:75]
	v_add_f64 v[74:75], v[38:39], v[30:31]
	v_add_f64 v[76:77], v[36:37], -v[14:15]
	v_add_f64 v[14:15], v[14:15], -v[44:45]
	;; [unrolled: 1-line block ×3, first 2 shown]
	v_add_f64 v[44:45], v[44:45], v[72:73]
	v_add_f64 v[78:79], v[38:39], -v[30:31]
	v_add_f64 v[30:31], v[30:31], -v[46:47]
	;; [unrolled: 1-line block ×4, first 2 shown]
	v_add_f64 v[46:47], v[46:47], v[74:75]
	v_add_f64 v[56:57], v[56:57], v[44:45]
	;; [unrolled: 1-line block ×4, first 2 shown]
	v_add_f64 v[86:87], v[50:51], -v[42:43]
	v_add_f64 v[40:41], v[40:41], -v[32:33]
	;; [unrolled: 1-line block ×3, first 2 shown]
	v_add_f64 v[58:59], v[58:59], v[46:47]
	v_mul_f64 v[94:95], v[84:85], s[10:11]
	v_mov_b64_e32 v[84:85], v[56:57]
	v_add_f64 v[48:49], v[32:33], -v[48:49]
	v_add_f64 v[50:51], v[34:35], -v[50:51]
	v_add_f64 v[32:33], v[80:81], v[32:33]
	v_add_f64 v[34:35], v[82:83], v[34:35]
	v_mul_f64 v[14:15], v[14:15], s[2:3]
	v_mul_f64 v[30:31], v[30:31], s[2:3]
	;; [unrolled: 1-line block ×7, first 2 shown]
	v_fmac_f64_e32 v[84:85], s[12:13], v[44:45]
	v_mov_b64_e32 v[44:45], v[58:59]
	v_fmac_f64_e32 v[44:45], s[12:13], v[46:47]
	v_fma_f64 v[46:47], v[76:77], s[14:15], -v[72:73]
	v_fma_f64 v[72:73], v[78:79], s[14:15], -v[74:75]
	;; [unrolled: 1-line block ×3, first 2 shown]
	v_fmac_f64_e32 v[14:15], s[0:1], v[36:37]
	v_fma_f64 v[36:37], v[78:79], s[16:17], -v[30:31]
	v_fmac_f64_e32 v[30:31], s[0:1], v[38:39]
	v_fma_f64 v[38:39], v[40:41], s[8:9], -v[94:95]
	;; [unrolled: 2-line block ×4, first 2 shown]
	v_fma_f64 v[48:49], v[50:51], s[22:23], -v[82:83]
	v_add_f64 v[14:15], v[14:15], v[84:85]
	v_add_f64 v[30:31], v[30:31], v[44:45]
	;; [unrolled: 1-line block ×6, first 2 shown]
	v_fmac_f64_e32 v[94:95], s[20:21], v[32:33]
	v_fmac_f64_e32 v[92:93], s[20:21], v[34:35]
	;; [unrolled: 1-line block ×6, first 2 shown]
	v_add_f64 v[72:73], v[92:93], v[14:15]
	v_add_f64 v[74:75], v[30:31], -v[94:95]
	v_add_f64 v[76:77], v[48:49], v[88:89]
	v_add_f64 v[78:79], v[36:37], -v[42:43]
	v_add_f64 v[80:81], v[46:47], -v[40:41]
	v_add_f64 v[82:83], v[38:39], v[50:51]
	v_add_f64 v[84:85], v[40:41], v[46:47]
	v_add_f64 v[86:87], v[50:51], -v[38:39]
	v_add_f64 v[88:89], v[88:89], -v[48:49]
	v_add_f64 v[90:91], v[42:43], v[36:37]
	v_add_f64 v[92:93], v[14:15], -v[92:93]
	v_add_f64 v[94:95], v[94:95], v[30:31]
	s_barrier
	ds_write_b128 v17, v[60:63]
	ds_write_b128 v17, v[6:9] offset:576
	ds_write_b128 v17, v[10:13] offset:1152
	;; [unrolled: 1-line block ×6, first 2 shown]
	ds_write_b128 v19, v[56:59]
	ds_write_b128 v19, v[72:75] offset:576
	ds_write_b128 v19, v[76:79] offset:1152
	;; [unrolled: 1-line block ×6, first 2 shown]
	s_waitcnt lgkmcnt(0)
	s_barrier
	ds_read_b128 v[6:9], v16
	ds_read_b128 v[56:59], v16 offset:2016
	ds_read_b128 v[10:13], v16 offset:4032
	;; [unrolled: 1-line block ×13, first 2 shown]
	s_waitcnt lgkmcnt(10)
	v_mul_f64 v[44:45], v[214:215], v[24:25]
	v_fmac_f64_e32 v[44:45], v[212:213], v[22:23]
	v_mul_f64 v[22:23], v[214:215], v[22:23]
	v_mul_f64 v[14:15], v[186:187], v[12:13]
	v_fma_f64 v[46:47], v[212:213], v[24:25], -v[22:23]
	s_waitcnt lgkmcnt(8)
	v_mul_f64 v[22:23], v[206:207], v[60:61]
	v_fmac_f64_e32 v[14:15], v[184:185], v[10:11]
	v_mul_f64 v[10:11], v[186:187], v[10:11]
	s_waitcnt lgkmcnt(5)
	v_mul_f64 v[34:35], v[170:171], v[72:73]
	s_waitcnt lgkmcnt(3)
	v_mul_f64 v[36:37], v[194:195], v[82:83]
	v_fma_f64 v[50:51], v[204:205], v[62:63], -v[22:23]
	v_mul_f64 v[22:23], v[202:203], v[68:69]
	v_fma_f64 v[10:11], v[184:185], v[12:13], -v[10:11]
	v_mul_f64 v[12:13], v[178:179], v[28:29]
	v_mul_f64 v[32:33], v[170:171], v[74:75]
	v_fma_f64 v[34:35], v[168:169], v[74:75], -v[34:35]
	v_fmac_f64_e32 v[36:37], v[192:193], v[80:81]
	v_mul_f64 v[38:39], v[194:195], v[80:81]
	v_fma_f64 v[74:75], v[200:201], v[70:71], -v[22:23]
	v_mul_f64 v[80:81], v[198:199], v[78:79]
	v_mul_f64 v[22:23], v[198:199], v[76:77]
	v_fmac_f64_e32 v[12:13], v[176:177], v[26:27]
	v_mul_f64 v[26:27], v[178:179], v[26:27]
	s_waitcnt lgkmcnt(1)
	v_mul_f64 v[40:41], v[182:183], v[90:91]
	v_fmac_f64_e32 v[80:81], v[196:197], v[76:77]
	v_fma_f64 v[76:77], v[196:197], v[78:79], -v[22:23]
	v_mul_f64 v[22:23], v[218:219], v[84:85]
	v_fma_f64 v[26:27], v[176:177], v[28:29], -v[26:27]
	v_mul_f64 v[28:29], v[174:175], v[66:67]
	v_fma_f64 v[38:39], v[192:193], v[82:83], -v[38:39]
	v_fmac_f64_e32 v[40:41], v[180:181], v[88:89]
	v_mul_f64 v[42:43], v[182:183], v[88:89]
	v_fma_f64 v[82:83], v[216:217], v[86:87], -v[22:23]
	s_waitcnt lgkmcnt(0)
	v_mul_f64 v[22:23], v[210:211], v[92:93]
	v_fmac_f64_e32 v[28:29], v[172:173], v[64:65]
	v_mul_f64 v[30:31], v[174:175], v[64:65]
	v_fmac_f64_e32 v[32:33], v[168:169], v[72:73]
	v_fma_f64 v[42:43], v[180:181], v[90:91], -v[42:43]
	v_mul_f64 v[78:79], v[218:219], v[86:87]
	v_fma_f64 v[86:87], v[208:209], v[94:95], -v[22:23]
	v_add_f64 v[22:23], v[14:15], v[40:41]
	v_add_f64 v[14:15], v[14:15], -v[40:41]
	v_add_f64 v[40:41], v[12:13], v[36:37]
	v_fma_f64 v[30:31], v[172:173], v[66:67], -v[30:31]
	v_add_f64 v[24:25], v[10:11], v[42:43]
	v_add_f64 v[10:11], v[10:11], -v[42:43]
	v_add_f64 v[42:43], v[26:27], v[38:39]
	v_add_f64 v[12:13], v[12:13], -v[36:37]
	;; [unrolled: 2-line block ×3, first 2 shown]
	v_add_f64 v[32:33], v[40:41], v[22:23]
	v_mul_f64 v[72:73], v[202:203], v[70:71]
	v_add_f64 v[26:27], v[26:27], -v[38:39]
	v_add_f64 v[38:39], v[30:31], v[34:35]
	v_add_f64 v[30:31], v[34:35], -v[30:31]
	v_add_f64 v[34:35], v[42:43], v[24:25]
	v_add_f64 v[32:33], v[36:37], v[32:33]
	v_mul_f64 v[48:49], v[206:207], v[62:63]
	v_fmac_f64_e32 v[72:73], v[200:201], v[68:69]
	v_add_f64 v[68:69], v[28:29], -v[12:13]
	v_add_f64 v[70:71], v[30:31], -v[26:27]
	v_add_f64 v[34:35], v[38:39], v[34:35]
	v_add_f64 v[6:7], v[6:7], v[32:33]
	v_fmac_f64_e32 v[48:49], v[204:205], v[60:61]
	v_add_f64 v[60:61], v[40:41], -v[22:23]
	v_add_f64 v[62:63], v[42:43], -v[24:25]
	;; [unrolled: 1-line block ×6, first 2 shown]
	v_add_f64 v[8:9], v[8:9], v[34:35]
	v_mul_f64 v[88:89], v[68:69], s[10:11]
	v_mul_f64 v[68:69], v[70:71], s[10:11]
	v_mov_b64_e32 v[70:71], v[6:7]
	v_add_f64 v[64:65], v[28:29], v[12:13]
	v_add_f64 v[66:67], v[30:31], v[26:27]
	v_add_f64 v[12:13], v[12:13], -v[14:15]
	v_add_f64 v[26:27], v[26:27], -v[10:11]
	v_mul_f64 v[22:23], v[22:23], s[2:3]
	v_mul_f64 v[24:25], v[24:25], s[2:3]
	;; [unrolled: 1-line block ×4, first 2 shown]
	v_fmac_f64_e32 v[70:71], s[12:13], v[32:33]
	v_mov_b64_e32 v[32:33], v[8:9]
	v_fmac_f64_e32 v[78:79], v[216:217], v[84:85]
	v_mul_f64 v[84:85], v[210:211], v[94:95]
	v_add_f64 v[28:29], v[14:15], -v[28:29]
	v_add_f64 v[30:31], v[10:11], -v[30:31]
	v_add_f64 v[14:15], v[64:65], v[14:15]
	v_add_f64 v[10:11], v[66:67], v[10:11]
	v_mul_f64 v[64:65], v[12:13], s[8:9]
	v_mul_f64 v[66:67], v[26:27], s[8:9]
	v_fmac_f64_e32 v[32:33], s[12:13], v[34:35]
	v_fma_f64 v[34:35], v[60:61], s[14:15], -v[36:37]
	v_fma_f64 v[36:37], v[62:63], s[14:15], -v[38:39]
	;; [unrolled: 1-line block ×3, first 2 shown]
	v_fmac_f64_e32 v[22:23], s[0:1], v[40:41]
	v_fma_f64 v[40:41], v[62:63], s[16:17], -v[24:25]
	v_fmac_f64_e32 v[24:25], s[0:1], v[42:43]
	v_fma_f64 v[42:43], v[12:13], s[8:9], -v[88:89]
	v_fmac_f64_e32 v[84:85], v[208:209], v[92:93]
	v_fmac_f64_e32 v[88:89], s[18:19], v[28:29]
	v_fma_f64 v[60:61], v[26:27], s[8:9], -v[68:69]
	v_fmac_f64_e32 v[68:69], s[18:19], v[30:31]
	v_fma_f64 v[90:91], v[28:29], s[22:23], -v[64:65]
	v_fma_f64 v[30:31], v[30:31], s[22:23], -v[66:67]
	v_add_f64 v[36:37], v[36:37], v[32:33]
	v_fmac_f64_e32 v[42:43], s[20:21], v[14:15]
	v_add_f64 v[94:95], v[24:25], v[32:33]
	v_add_f64 v[38:39], v[38:39], v[70:71]
	;; [unrolled: 1-line block ×3, first 2 shown]
	v_fmac_f64_e32 v[88:89], s[20:21], v[14:15]
	v_fmac_f64_e32 v[90:91], s[20:21], v[14:15]
	;; [unrolled: 1-line block ×3, first 2 shown]
	v_add_f64 v[28:29], v[42:43], v[36:37]
	v_add_f64 v[62:63], v[36:37], -v[42:43]
	v_add_f64 v[14:15], v[44:45], v[84:85]
	v_add_f64 v[36:37], v[48:49], v[78:79]
	;; [unrolled: 1-line block ×4, first 2 shown]
	v_fmac_f64_e32 v[60:61], s[20:21], v[10:11]
	v_add_f64 v[22:23], v[30:31], v[38:39]
	v_add_f64 v[24:25], v[32:33], -v[90:91]
	v_add_f64 v[64:65], v[38:39], -v[30:31]
	v_add_f64 v[66:67], v[90:91], v[32:33]
	v_add_f64 v[30:31], v[46:47], v[86:87]
	v_add_f64 v[32:33], v[44:45], -v[84:85]
	v_add_f64 v[38:39], v[50:51], v[82:83]
	v_add_f64 v[40:41], v[48:49], -v[78:79]
	;; [unrolled: 2-line block ×5, first 2 shown]
	v_add_f64 v[42:43], v[50:51], -v[82:83]
	v_add_f64 v[46:47], v[74:75], v[76:77]
	v_add_f64 v[50:51], v[76:77], -v[74:75]
	v_add_f64 v[74:75], v[38:39], v[30:31]
	v_add_f64 v[76:77], v[36:37], -v[14:15]
	v_add_f64 v[14:15], v[14:15], -v[44:45]
	;; [unrolled: 1-line block ×3, first 2 shown]
	v_add_f64 v[44:45], v[44:45], v[72:73]
	v_fmac_f64_e32 v[68:69], s[20:21], v[10:11]
	v_add_f64 v[78:79], v[38:39], -v[30:31]
	v_add_f64 v[30:31], v[30:31], -v[46:47]
	;; [unrolled: 1-line block ×4, first 2 shown]
	v_add_f64 v[46:47], v[46:47], v[74:75]
	v_add_f64 v[56:57], v[56:57], v[44:45]
	v_add_f64 v[10:11], v[68:69], v[92:93]
	v_add_f64 v[68:69], v[92:93], -v[68:69]
	v_add_f64 v[80:81], v[48:49], v[40:41]
	v_add_f64 v[82:83], v[50:51], v[42:43]
	v_add_f64 v[84:85], v[48:49], -v[40:41]
	v_add_f64 v[40:41], v[40:41], -v[32:33]
	;; [unrolled: 1-line block ×3, first 2 shown]
	v_add_f64 v[58:59], v[58:59], v[46:47]
	v_mul_f64 v[92:93], v[86:87], s[10:11]
	v_mov_b64_e32 v[86:87], v[56:57]
	v_add_f64 v[48:49], v[32:33], -v[48:49]
	v_add_f64 v[50:51], v[34:35], -v[50:51]
	v_add_f64 v[32:33], v[80:81], v[32:33]
	v_add_f64 v[34:35], v[82:83], v[34:35]
	v_mul_f64 v[14:15], v[14:15], s[2:3]
	v_mul_f64 v[30:31], v[30:31], s[2:3]
	;; [unrolled: 1-line block ×7, first 2 shown]
	v_fmac_f64_e32 v[86:87], s[12:13], v[44:45]
	v_mov_b64_e32 v[44:45], v[58:59]
	v_fmac_f64_e32 v[44:45], s[12:13], v[46:47]
	v_fma_f64 v[36:37], s[0:1], v[36:37], v[14:15]
	v_fma_f64 v[46:47], v[76:77], s[14:15], -v[72:73]
	v_fma_f64 v[72:73], v[78:79], s[14:15], -v[74:75]
	;; [unrolled: 1-line block ×4, first 2 shown]
	v_fmac_f64_e32 v[30:31], s[0:1], v[38:39]
	v_fma_f64 v[38:39], s[18:19], v[48:49], v[80:81]
	v_fma_f64 v[40:41], v[40:41], s[8:9], -v[80:81]
	v_fma_f64 v[42:43], v[42:43], s[8:9], -v[92:93]
	v_fmac_f64_e32 v[92:93], s[18:19], v[50:51]
	v_fma_f64 v[48:49], v[48:49], s[22:23], -v[82:83]
	v_fma_f64 v[50:51], v[50:51], s[22:23], -v[84:85]
	v_add_f64 v[12:13], v[94:95], -v[88:89]
	v_add_f64 v[70:71], v[88:89], v[94:95]
	v_add_f64 v[36:37], v[36:37], v[86:87]
	v_add_f64 v[30:31], v[30:31], v[44:45]
	v_add_f64 v[46:47], v[46:47], v[86:87]
	v_add_f64 v[88:89], v[72:73], v[44:45]
	v_add_f64 v[14:15], v[14:15], v[86:87]
	v_add_f64 v[44:45], v[74:75], v[44:45]
	v_fmac_f64_e32 v[38:39], s[20:21], v[32:33]
	v_fmac_f64_e32 v[92:93], s[20:21], v[34:35]
	;; [unrolled: 1-line block ×6, first 2 shown]
	v_add_f64 v[72:73], v[92:93], v[36:37]
	v_add_f64 v[74:75], v[30:31], -v[38:39]
	v_add_f64 v[76:77], v[50:51], v[14:15]
	v_add_f64 v[78:79], v[44:45], -v[48:49]
	v_add_f64 v[80:81], v[46:47], -v[42:43]
	v_add_f64 v[82:83], v[40:41], v[88:89]
	v_add_f64 v[84:85], v[42:43], v[46:47]
	v_add_f64 v[86:87], v[88:89], -v[40:41]
	v_add_f64 v[88:89], v[14:15], -v[50:51]
	v_add_f64 v[90:91], v[48:49], v[44:45]
	v_add_f64 v[92:93], v[36:37], -v[92:93]
	v_add_f64 v[94:95], v[38:39], v[30:31]
	ds_write_b128 v16, v[6:9]
	ds_write_b128 v16, v[10:13] offset:4032
	ds_write_b128 v16, v[22:25] offset:8064
	;; [unrolled: 1-line block ×13, first 2 shown]
	s_waitcnt lgkmcnt(0)
	s_barrier
	ds_read_b128 v[6:9], v16
	ds_read_b128 v[56:59], v16 offset:2016
	v_mov_b32_e32 v4, v3
	v_mad_u64_u32 v[4:5], s[0:1], s7, v20, v[4:5]
	v_mov_b32_e32 v3, v4
	s_waitcnt lgkmcnt(1)
	v_mul_f64 v[4:5], v[54:55], v[8:9]
	v_fmac_f64_e32 v[4:5], v[52:53], v[6:7]
	v_mul_f64 v[6:7], v[54:55], v[6:7]
	v_mad_u64_u32 v[12:13], s[2:3], s4, v18, 0
	v_fma_f64 v[6:7], v[52:53], v[8:9], -v[6:7]
	v_mov_b32_e32 v8, v13
	v_mad_u64_u32 v[8:9], s[2:3], s5, v18, v[8:9]
	v_mov_b32_e32 v13, v8
	ds_read_b128 v[8:11], v16 offset:14112
	s_mov_b32 s0, 0x5bb804a5
	s_mov_b32 s1, 0x3f429372
	v_lshl_add_u64 v[0:1], v[2:3], 4, v[0:1]
	v_accvgpr_read_b32 v21, a11
	v_mul_f64 v[4:5], v[4:5], s[0:1]
	v_mul_f64 v[6:7], v[6:7], s[0:1]
	v_lshl_add_u64 v[12:13], v[12:13], 4, v[0:1]
	ds_read_b128 v[0:3], v16 offset:12096
	v_accvgpr_read_b32 v20, a10
	global_store_dwordx4 v[12:13], v[4:7], off
	v_accvgpr_read_b32 v19, a9
	v_accvgpr_read_b32 v18, a8
	s_waitcnt lgkmcnt(1)
	v_mul_f64 v[4:5], v[20:21], v[10:11]
	v_mul_f64 v[6:7], v[20:21], v[8:9]
	v_mov_b32_e32 v24, 0x3720
	v_fmac_f64_e32 v[4:5], v[18:19], v[8:9]
	v_fma_f64 v[6:7], v[18:19], v[10:11], -v[6:7]
	v_mad_u64_u32 v[8:9], s[2:3], s4, v24, v[12:13]
	s_mul_i32 s6, s5, 0x3720
	v_accvgpr_read_b32 v13, a3
	v_mul_f64 v[4:5], v[4:5], s[0:1]
	v_mul_f64 v[6:7], v[6:7], s[0:1]
	v_add_u32_e32 v9, s6, v9
	v_accvgpr_read_b32 v12, a2
	global_store_dwordx4 v[8:9], v[4:7], off
	v_accvgpr_read_b32 v11, a1
	v_accvgpr_read_b32 v10, a0
	v_mul_f64 v[4:5], v[12:13], v[58:59]
	v_mul_f64 v[6:7], v[12:13], v[56:57]
	v_mov_b32_e32 v25, 0xffffd0c0
	v_fmac_f64_e32 v[4:5], v[10:11], v[56:57]
	v_fma_f64 v[6:7], v[10:11], v[58:59], -v[6:7]
	v_mad_u64_u32 v[18:19], s[2:3], s4, v25, v[8:9]
	ds_read_b128 v[8:11], v16 offset:16128
	s_mul_i32 s2, s5, 0xffffd0c0
	s_sub_i32 s5, s2, s4
	v_accvgpr_read_b32 v23, a7
	v_mul_f64 v[4:5], v[4:5], s[0:1]
	v_mul_f64 v[6:7], v[6:7], s[0:1]
	v_add_u32_e32 v19, s5, v19
	v_accvgpr_read_b32 v22, a6
	global_store_dwordx4 v[18:19], v[4:7], off
	ds_read_b128 v[4:7], v16 offset:18144
	v_accvgpr_read_b32 v21, a5
	v_accvgpr_read_b32 v20, a4
	s_waitcnt lgkmcnt(1)
	v_mul_f64 v[12:13], v[22:23], v[10:11]
	v_fmac_f64_e32 v[12:13], v[20:21], v[8:9]
	v_mul_f64 v[8:9], v[22:23], v[8:9]
	v_fma_f64 v[8:9], v[20:21], v[10:11], -v[8:9]
	v_mul_f64 v[14:15], v[8:9], s[0:1]
	ds_read_b128 v[8:11], v16 offset:4032
	v_mad_u64_u32 v[22:23], s[2:3], s4, v24, v[18:19]
	v_accvgpr_read_b32 v29, a15
	v_mul_f64 v[12:13], v[12:13], s[0:1]
	v_add_u32_e32 v23, s6, v23
	v_accvgpr_read_b32 v28, a14
	global_store_dwordx4 v[22:23], v[12:15], off
	ds_read_b128 v[12:15], v16 offset:6048
	v_accvgpr_read_b32 v27, a13
	v_accvgpr_read_b32 v26, a12
	s_waitcnt lgkmcnt(1)
	v_mul_f64 v[18:19], v[28:29], v[10:11]
	v_fmac_f64_e32 v[18:19], v[26:27], v[8:9]
	v_mul_f64 v[8:9], v[28:29], v[8:9]
	v_fma_f64 v[8:9], v[26:27], v[10:11], -v[8:9]
	v_mad_u64_u32 v[22:23], s[2:3], s4, v25, v[22:23]
	v_mul_f64 v[18:19], v[18:19], s[0:1]
	v_mul_f64 v[20:21], v[8:9], s[0:1]
	v_add_u32_e32 v23, s5, v23
	global_store_dwordx4 v[22:23], v[18:21], off
	v_accvgpr_read_b32 v29, a27
	v_accvgpr_read_b32 v28, a26
	;; [unrolled: 1-line block ×6, first 2 shown]
	v_mul_f64 v[8:9], v[20:21], v[6:7]
	v_fmac_f64_e32 v[8:9], v[18:19], v[4:5]
	v_mul_f64 v[4:5], v[20:21], v[4:5]
	v_fma_f64 v[4:5], v[18:19], v[6:7], -v[4:5]
	v_mad_u64_u32 v[18:19], s[2:3], s4, v24, v[22:23]
	v_mul_f64 v[8:9], v[8:9], s[0:1]
	v_mul_f64 v[10:11], v[4:5], s[0:1]
	v_add_u32_e32 v19, s6, v19
	global_store_dwordx4 v[18:19], v[8:11], off
	v_mad_u64_u32 v[18:19], s[2:3], s4, v25, v[18:19]
	s_nop 0
	v_accvgpr_read_b32 v8, a28
	v_accvgpr_read_b32 v10, a30
	;; [unrolled: 1-line block ×4, first 2 shown]
	s_waitcnt lgkmcnt(0)
	v_mul_f64 v[4:5], v[10:11], v[14:15]
	v_mul_f64 v[6:7], v[10:11], v[12:13]
	v_fmac_f64_e32 v[4:5], v[8:9], v[12:13]
	v_fma_f64 v[6:7], v[8:9], v[14:15], -v[6:7]
	ds_read_b128 v[8:11], v16 offset:20160
	v_accvgpr_read_b32 v23, a19
	v_mul_f64 v[4:5], v[4:5], s[0:1]
	v_mul_f64 v[6:7], v[6:7], s[0:1]
	v_add_u32_e32 v19, s5, v19
	v_accvgpr_read_b32 v22, a18
	global_store_dwordx4 v[18:19], v[4:7], off
	ds_read_b128 v[4:7], v16 offset:22176
	v_accvgpr_read_b32 v21, a17
	v_accvgpr_read_b32 v20, a16
	s_waitcnt lgkmcnt(1)
	v_mul_f64 v[12:13], v[22:23], v[10:11]
	v_fmac_f64_e32 v[12:13], v[20:21], v[8:9]
	v_mul_f64 v[8:9], v[22:23], v[8:9]
	v_fma_f64 v[8:9], v[20:21], v[10:11], -v[8:9]
	v_mul_f64 v[14:15], v[8:9], s[0:1]
	ds_read_b128 v[8:11], v16 offset:8064
	v_mad_u64_u32 v[22:23], s[2:3], s4, v24, v[18:19]
	v_mul_f64 v[12:13], v[12:13], s[0:1]
	v_add_u32_e32 v23, s6, v23
	global_store_dwordx4 v[22:23], v[12:15], off
	ds_read_b128 v[12:15], v16 offset:10080
	v_accvgpr_read_b32 v27, a25
	v_accvgpr_read_b32 v26, a24
	s_waitcnt lgkmcnt(1)
	v_mul_f64 v[18:19], v[28:29], v[10:11]
	v_fmac_f64_e32 v[18:19], v[26:27], v[8:9]
	v_mul_f64 v[8:9], v[28:29], v[8:9]
	v_fma_f64 v[8:9], v[26:27], v[10:11], -v[8:9]
	v_mad_u64_u32 v[22:23], s[2:3], s4, v25, v[22:23]
	v_mul_f64 v[18:19], v[18:19], s[0:1]
	v_mul_f64 v[20:21], v[8:9], s[0:1]
	v_add_u32_e32 v23, s5, v23
	global_store_dwordx4 v[22:23], v[18:21], off
	s_nop 1
	v_accvgpr_read_b32 v18, a40
	v_accvgpr_read_b32 v20, a42
	;; [unrolled: 1-line block ×4, first 2 shown]
	v_mul_f64 v[8:9], v[20:21], v[6:7]
	v_fmac_f64_e32 v[8:9], v[18:19], v[4:5]
	v_mul_f64 v[4:5], v[20:21], v[4:5]
	v_fma_f64 v[4:5], v[18:19], v[6:7], -v[4:5]
	v_mad_u64_u32 v[18:19], s[2:3], s4, v24, v[22:23]
	v_mul_f64 v[8:9], v[8:9], s[0:1]
	v_mul_f64 v[10:11], v[4:5], s[0:1]
	v_add_u32_e32 v19, s6, v19
	global_store_dwordx4 v[18:19], v[8:11], off
	v_mad_u64_u32 v[18:19], s[2:3], s4, v25, v[18:19]
	s_nop 0
	v_accvgpr_read_b32 v8, a36
	v_accvgpr_read_b32 v10, a38
	;; [unrolled: 1-line block ×4, first 2 shown]
	s_waitcnt lgkmcnt(0)
	v_mul_f64 v[4:5], v[10:11], v[14:15]
	v_mul_f64 v[6:7], v[10:11], v[12:13]
	v_fmac_f64_e32 v[4:5], v[8:9], v[12:13]
	v_fma_f64 v[6:7], v[8:9], v[14:15], -v[6:7]
	ds_read_b128 v[8:11], v16 offset:24192
	v_mul_f64 v[4:5], v[4:5], s[0:1]
	v_mul_f64 v[6:7], v[6:7], s[0:1]
	v_add_u32_e32 v19, s5, v19
	global_store_dwordx4 v[18:19], v[4:7], off
	ds_read_b128 v[4:7], v16 offset:26208
	v_accvgpr_read_b32 v14, a32
	v_accvgpr_read_b32 v16, a34
	v_accvgpr_read_b32 v17, a35
	v_accvgpr_read_b32 v15, a33
	s_waitcnt lgkmcnt(1)
	v_mul_f64 v[12:13], v[16:17], v[10:11]
	v_fmac_f64_e32 v[12:13], v[14:15], v[8:9]
	v_mul_f64 v[8:9], v[16:17], v[8:9]
	v_fma_f64 v[8:9], v[14:15], v[10:11], -v[8:9]
	v_mad_u64_u32 v[16:17], s[2:3], s4, v24, v[18:19]
	v_mul_f64 v[12:13], v[12:13], s[0:1]
	v_mul_f64 v[14:15], v[8:9], s[0:1]
	v_add_u32_e32 v17, s6, v17
	global_store_dwordx4 v[16:17], v[12:15], off
	v_accvgpr_read_b32 v10, a44
	v_accvgpr_read_b32 v11, a45
	;; [unrolled: 1-line block ×4, first 2 shown]
	v_mul_f64 v[8:9], v[12:13], v[2:3]
	v_fmac_f64_e32 v[8:9], v[10:11], v[0:1]
	v_mul_f64 v[0:1], v[12:13], v[0:1]
	v_fma_f64 v[0:1], v[10:11], v[2:3], -v[0:1]
	v_mad_u64_u32 v[12:13], s[2:3], s4, v25, v[16:17]
	v_mul_f64 v[8:9], v[8:9], s[0:1]
	v_mul_f64 v[10:11], v[0:1], s[0:1]
	v_add_u32_e32 v13, s5, v13
	global_store_dwordx4 v[12:13], v[8:11], off
	s_nop 1
	v_accvgpr_read_b32 v8, a48
	v_accvgpr_read_b32 v10, a50
	;; [unrolled: 1-line block ×4, first 2 shown]
	s_waitcnt lgkmcnt(0)
	v_mul_f64 v[0:1], v[10:11], v[6:7]
	v_mul_f64 v[2:3], v[10:11], v[4:5]
	v_fmac_f64_e32 v[0:1], v[8:9], v[4:5]
	v_fma_f64 v[2:3], v[8:9], v[6:7], -v[2:3]
	v_mul_f64 v[0:1], v[0:1], s[0:1]
	v_mul_f64 v[2:3], v[2:3], s[0:1]
	v_mad_u64_u32 v[4:5], s[0:1], s4, v24, v[12:13]
	v_add_u32_e32 v5, s6, v5
	global_store_dwordx4 v[4:5], v[0:3], off
.LBB0_18:
	s_endpgm
	.section	.rodata,"a",@progbits
	.p2align	6, 0x0
	.amdhsa_kernel bluestein_single_fwd_len1764_dim1_dp_op_CI_CI
		.amdhsa_group_segment_fixed_size 28224
		.amdhsa_private_segment_fixed_size 0
		.amdhsa_kernarg_size 104
		.amdhsa_user_sgpr_count 2
		.amdhsa_user_sgpr_dispatch_ptr 0
		.amdhsa_user_sgpr_queue_ptr 0
		.amdhsa_user_sgpr_kernarg_segment_ptr 1
		.amdhsa_user_sgpr_dispatch_id 0
		.amdhsa_user_sgpr_kernarg_preload_length 0
		.amdhsa_user_sgpr_kernarg_preload_offset 0
		.amdhsa_user_sgpr_private_segment_size 0
		.amdhsa_uses_dynamic_stack 0
		.amdhsa_enable_private_segment 0
		.amdhsa_system_sgpr_workgroup_id_x 1
		.amdhsa_system_sgpr_workgroup_id_y 0
		.amdhsa_system_sgpr_workgroup_id_z 0
		.amdhsa_system_sgpr_workgroup_info 0
		.amdhsa_system_vgpr_workitem_id 0
		.amdhsa_next_free_vgpr 336
		.amdhsa_next_free_sgpr 28
		.amdhsa_accum_offset 256
		.amdhsa_reserve_vcc 1
		.amdhsa_float_round_mode_32 0
		.amdhsa_float_round_mode_16_64 0
		.amdhsa_float_denorm_mode_32 3
		.amdhsa_float_denorm_mode_16_64 3
		.amdhsa_dx10_clamp 1
		.amdhsa_ieee_mode 1
		.amdhsa_fp16_overflow 0
		.amdhsa_tg_split 0
		.amdhsa_exception_fp_ieee_invalid_op 0
		.amdhsa_exception_fp_denorm_src 0
		.amdhsa_exception_fp_ieee_div_zero 0
		.amdhsa_exception_fp_ieee_overflow 0
		.amdhsa_exception_fp_ieee_underflow 0
		.amdhsa_exception_fp_ieee_inexact 0
		.amdhsa_exception_int_div_zero 0
	.end_amdhsa_kernel
	.text
.Lfunc_end0:
	.size	bluestein_single_fwd_len1764_dim1_dp_op_CI_CI, .Lfunc_end0-bluestein_single_fwd_len1764_dim1_dp_op_CI_CI
                                        ; -- End function
	.section	.AMDGPU.csdata,"",@progbits
; Kernel info:
; codeLenInByte = 20060
; NumSgprs: 34
; NumVgprs: 256
; NumAgprs: 80
; TotalNumVgprs: 336
; ScratchSize: 0
; MemoryBound: 0
; FloatMode: 240
; IeeeMode: 1
; LDSByteSize: 28224 bytes/workgroup (compile time only)
; SGPRBlocks: 4
; VGPRBlocks: 41
; NumSGPRsForWavesPerEU: 34
; NumVGPRsForWavesPerEU: 336
; AccumOffset: 256
; Occupancy: 1
; WaveLimiterHint : 1
; COMPUTE_PGM_RSRC2:SCRATCH_EN: 0
; COMPUTE_PGM_RSRC2:USER_SGPR: 2
; COMPUTE_PGM_RSRC2:TRAP_HANDLER: 0
; COMPUTE_PGM_RSRC2:TGID_X_EN: 1
; COMPUTE_PGM_RSRC2:TGID_Y_EN: 0
; COMPUTE_PGM_RSRC2:TGID_Z_EN: 0
; COMPUTE_PGM_RSRC2:TIDIG_COMP_CNT: 0
; COMPUTE_PGM_RSRC3_GFX90A:ACCUM_OFFSET: 63
; COMPUTE_PGM_RSRC3_GFX90A:TG_SPLIT: 0
	.text
	.p2alignl 6, 3212836864
	.fill 256, 4, 3212836864
	.type	__hip_cuid_2fb81ba4eb491b50,@object ; @__hip_cuid_2fb81ba4eb491b50
	.section	.bss,"aw",@nobits
	.globl	__hip_cuid_2fb81ba4eb491b50
__hip_cuid_2fb81ba4eb491b50:
	.byte	0                               ; 0x0
	.size	__hip_cuid_2fb81ba4eb491b50, 1

	.ident	"AMD clang version 19.0.0git (https://github.com/RadeonOpenCompute/llvm-project roc-6.4.0 25133 c7fe45cf4b819c5991fe208aaa96edf142730f1d)"
	.section	".note.GNU-stack","",@progbits
	.addrsig
	.addrsig_sym __hip_cuid_2fb81ba4eb491b50
	.amdgpu_metadata
---
amdhsa.kernels:
  - .agpr_count:     80
    .args:
      - .actual_access:  read_only
        .address_space:  global
        .offset:         0
        .size:           8
        .value_kind:     global_buffer
      - .actual_access:  read_only
        .address_space:  global
        .offset:         8
        .size:           8
        .value_kind:     global_buffer
      - .actual_access:  read_only
        .address_space:  global
        .offset:         16
        .size:           8
        .value_kind:     global_buffer
      - .actual_access:  read_only
        .address_space:  global
        .offset:         24
        .size:           8
        .value_kind:     global_buffer
      - .actual_access:  read_only
        .address_space:  global
        .offset:         32
        .size:           8
        .value_kind:     global_buffer
      - .offset:         40
        .size:           8
        .value_kind:     by_value
      - .address_space:  global
        .offset:         48
        .size:           8
        .value_kind:     global_buffer
      - .address_space:  global
        .offset:         56
        .size:           8
        .value_kind:     global_buffer
      - .address_space:  global
        .offset:         64
        .size:           8
        .value_kind:     global_buffer
      - .address_space:  global
        .offset:         72
        .size:           8
        .value_kind:     global_buffer
      - .offset:         80
        .size:           4
        .value_kind:     by_value
      - .address_space:  global
        .offset:         88
        .size:           8
        .value_kind:     global_buffer
      - .address_space:  global
        .offset:         96
        .size:           8
        .value_kind:     global_buffer
    .group_segment_fixed_size: 28224
    .kernarg_segment_align: 8
    .kernarg_segment_size: 104
    .language:       OpenCL C
    .language_version:
      - 2
      - 0
    .max_flat_workgroup_size: 126
    .name:           bluestein_single_fwd_len1764_dim1_dp_op_CI_CI
    .private_segment_fixed_size: 0
    .sgpr_count:     34
    .sgpr_spill_count: 0
    .symbol:         bluestein_single_fwd_len1764_dim1_dp_op_CI_CI.kd
    .uniform_work_group_size: 1
    .uses_dynamic_stack: false
    .vgpr_count:     336
    .vgpr_spill_count: 0
    .wavefront_size: 64
amdhsa.target:   amdgcn-amd-amdhsa--gfx950
amdhsa.version:
  - 1
  - 2
...

	.end_amdgpu_metadata
